;; amdgpu-corpus repo=ROCm/rocFFT kind=compiled arch=gfx1201 opt=O3
	.text
	.amdgcn_target "amdgcn-amd-amdhsa--gfx1201"
	.amdhsa_code_object_version 6
	.protected	fft_rtc_back_len1890_factors_2_3_3_3_7_5_wgs_126_tpt_126_halfLds_half_ip_CI_unitstride_sbrr_C2R_dirReg ; -- Begin function fft_rtc_back_len1890_factors_2_3_3_3_7_5_wgs_126_tpt_126_halfLds_half_ip_CI_unitstride_sbrr_C2R_dirReg
	.globl	fft_rtc_back_len1890_factors_2_3_3_3_7_5_wgs_126_tpt_126_halfLds_half_ip_CI_unitstride_sbrr_C2R_dirReg
	.p2align	8
	.type	fft_rtc_back_len1890_factors_2_3_3_3_7_5_wgs_126_tpt_126_halfLds_half_ip_CI_unitstride_sbrr_C2R_dirReg,@function
fft_rtc_back_len1890_factors_2_3_3_3_7_5_wgs_126_tpt_126_halfLds_half_ip_CI_unitstride_sbrr_C2R_dirReg: ; @fft_rtc_back_len1890_factors_2_3_3_3_7_5_wgs_126_tpt_126_halfLds_half_ip_CI_unitstride_sbrr_C2R_dirReg
; %bb.0:
	s_clause 0x2
	s_load_b128 s[4:7], s[0:1], 0x0
	s_load_b64 s[8:9], s[0:1], 0x50
	s_load_b64 s[10:11], s[0:1], 0x18
	v_mul_u32_u24_e32 v1, 0x209, v0
	v_mov_b32_e32 v3, 0
	s_delay_alu instid0(VALU_DEP_2) | instskip(NEXT) | instid1(VALU_DEP_1)
	v_lshrrev_b32_e32 v1, 16, v1
	v_add_nc_u32_e32 v5, ttmp9, v1
	v_mov_b32_e32 v1, 0
	v_mov_b32_e32 v2, 0
	;; [unrolled: 1-line block ×3, first 2 shown]
	s_wait_kmcnt 0x0
	v_cmp_lt_u64_e64 s2, s[6:7], 2
	s_delay_alu instid0(VALU_DEP_1)
	s_and_b32 vcc_lo, exec_lo, s2
	s_cbranch_vccnz .LBB0_8
; %bb.1:
	s_load_b64 s[2:3], s[0:1], 0x10
	v_mov_b32_e32 v1, 0
	v_mov_b32_e32 v2, 0
	s_add_nc_u64 s[12:13], s[10:11], 8
	s_mov_b64 s[14:15], 1
	s_wait_kmcnt 0x0
	s_add_nc_u64 s[16:17], s[2:3], 8
	s_mov_b32 s3, 0
.LBB0_2:                                ; =>This Inner Loop Header: Depth=1
	s_load_b64 s[18:19], s[16:17], 0x0
                                        ; implicit-def: $vgpr7_vgpr8
	s_mov_b32 s2, exec_lo
	s_wait_kmcnt 0x0
	v_or_b32_e32 v4, s19, v6
	s_delay_alu instid0(VALU_DEP_1)
	v_cmpx_ne_u64_e32 0, v[3:4]
	s_wait_alu 0xfffe
	s_xor_b32 s20, exec_lo, s2
	s_cbranch_execz .LBB0_4
; %bb.3:                                ;   in Loop: Header=BB0_2 Depth=1
	s_cvt_f32_u32 s2, s18
	s_cvt_f32_u32 s21, s19
	s_sub_nc_u64 s[24:25], 0, s[18:19]
	s_wait_alu 0xfffe
	s_delay_alu instid0(SALU_CYCLE_1) | instskip(SKIP_1) | instid1(SALU_CYCLE_2)
	s_fmamk_f32 s2, s21, 0x4f800000, s2
	s_wait_alu 0xfffe
	v_s_rcp_f32 s2, s2
	s_delay_alu instid0(TRANS32_DEP_1) | instskip(SKIP_1) | instid1(SALU_CYCLE_2)
	s_mul_f32 s2, s2, 0x5f7ffffc
	s_wait_alu 0xfffe
	s_mul_f32 s21, s2, 0x2f800000
	s_wait_alu 0xfffe
	s_delay_alu instid0(SALU_CYCLE_2) | instskip(SKIP_1) | instid1(SALU_CYCLE_2)
	s_trunc_f32 s21, s21
	s_wait_alu 0xfffe
	s_fmamk_f32 s2, s21, 0xcf800000, s2
	s_cvt_u32_f32 s23, s21
	s_wait_alu 0xfffe
	s_delay_alu instid0(SALU_CYCLE_1) | instskip(SKIP_1) | instid1(SALU_CYCLE_2)
	s_cvt_u32_f32 s22, s2
	s_wait_alu 0xfffe
	s_mul_u64 s[26:27], s[24:25], s[22:23]
	s_wait_alu 0xfffe
	s_mul_hi_u32 s29, s22, s27
	s_mul_i32 s28, s22, s27
	s_mul_hi_u32 s2, s22, s26
	s_mul_i32 s30, s23, s26
	s_wait_alu 0xfffe
	s_add_nc_u64 s[28:29], s[2:3], s[28:29]
	s_mul_hi_u32 s21, s23, s26
	s_mul_hi_u32 s31, s23, s27
	s_add_co_u32 s2, s28, s30
	s_wait_alu 0xfffe
	s_add_co_ci_u32 s2, s29, s21
	s_mul_i32 s26, s23, s27
	s_add_co_ci_u32 s27, s31, 0
	s_wait_alu 0xfffe
	s_add_nc_u64 s[26:27], s[2:3], s[26:27]
	s_wait_alu 0xfffe
	v_add_co_u32 v4, s2, s22, s26
	s_delay_alu instid0(VALU_DEP_1) | instskip(SKIP_1) | instid1(VALU_DEP_1)
	s_cmp_lg_u32 s2, 0
	s_add_co_ci_u32 s23, s23, s27
	v_readfirstlane_b32 s22, v4
	s_wait_alu 0xfffe
	s_delay_alu instid0(VALU_DEP_1)
	s_mul_u64 s[24:25], s[24:25], s[22:23]
	s_wait_alu 0xfffe
	s_mul_hi_u32 s27, s22, s25
	s_mul_i32 s26, s22, s25
	s_mul_hi_u32 s2, s22, s24
	s_mul_i32 s28, s23, s24
	s_wait_alu 0xfffe
	s_add_nc_u64 s[26:27], s[2:3], s[26:27]
	s_mul_hi_u32 s21, s23, s24
	s_mul_hi_u32 s22, s23, s25
	s_wait_alu 0xfffe
	s_add_co_u32 s2, s26, s28
	s_add_co_ci_u32 s2, s27, s21
	s_mul_i32 s24, s23, s25
	s_add_co_ci_u32 s25, s22, 0
	s_wait_alu 0xfffe
	s_add_nc_u64 s[24:25], s[2:3], s[24:25]
	s_wait_alu 0xfffe
	v_add_co_u32 v4, s2, v4, s24
	s_delay_alu instid0(VALU_DEP_1) | instskip(SKIP_1) | instid1(VALU_DEP_1)
	s_cmp_lg_u32 s2, 0
	s_add_co_ci_u32 s2, s23, s25
	v_mul_hi_u32 v13, v5, v4
	s_wait_alu 0xfffe
	v_mad_co_u64_u32 v[7:8], null, v5, s2, 0
	v_mad_co_u64_u32 v[9:10], null, v6, v4, 0
	;; [unrolled: 1-line block ×3, first 2 shown]
	s_delay_alu instid0(VALU_DEP_3) | instskip(SKIP_1) | instid1(VALU_DEP_4)
	v_add_co_u32 v4, vcc_lo, v13, v7
	s_wait_alu 0xfffd
	v_add_co_ci_u32_e32 v7, vcc_lo, 0, v8, vcc_lo
	s_delay_alu instid0(VALU_DEP_2) | instskip(SKIP_1) | instid1(VALU_DEP_2)
	v_add_co_u32 v4, vcc_lo, v4, v9
	s_wait_alu 0xfffd
	v_add_co_ci_u32_e32 v4, vcc_lo, v7, v10, vcc_lo
	s_wait_alu 0xfffd
	v_add_co_ci_u32_e32 v7, vcc_lo, 0, v12, vcc_lo
	s_delay_alu instid0(VALU_DEP_2) | instskip(SKIP_1) | instid1(VALU_DEP_2)
	v_add_co_u32 v4, vcc_lo, v4, v11
	s_wait_alu 0xfffd
	v_add_co_ci_u32_e32 v9, vcc_lo, 0, v7, vcc_lo
	s_delay_alu instid0(VALU_DEP_2) | instskip(SKIP_1) | instid1(VALU_DEP_3)
	v_mul_lo_u32 v10, s19, v4
	v_mad_co_u64_u32 v[7:8], null, s18, v4, 0
	v_mul_lo_u32 v11, s18, v9
	s_delay_alu instid0(VALU_DEP_2) | instskip(NEXT) | instid1(VALU_DEP_2)
	v_sub_co_u32 v7, vcc_lo, v5, v7
	v_add3_u32 v8, v8, v11, v10
	s_delay_alu instid0(VALU_DEP_1) | instskip(SKIP_1) | instid1(VALU_DEP_1)
	v_sub_nc_u32_e32 v10, v6, v8
	s_wait_alu 0xfffd
	v_subrev_co_ci_u32_e64 v10, s2, s19, v10, vcc_lo
	v_add_co_u32 v11, s2, v4, 2
	s_wait_alu 0xf1ff
	v_add_co_ci_u32_e64 v12, s2, 0, v9, s2
	v_sub_co_u32 v13, s2, v7, s18
	v_sub_co_ci_u32_e32 v8, vcc_lo, v6, v8, vcc_lo
	s_wait_alu 0xf1ff
	v_subrev_co_ci_u32_e64 v10, s2, 0, v10, s2
	s_delay_alu instid0(VALU_DEP_3) | instskip(NEXT) | instid1(VALU_DEP_3)
	v_cmp_le_u32_e32 vcc_lo, s18, v13
	v_cmp_eq_u32_e64 s2, s19, v8
	s_wait_alu 0xfffd
	v_cndmask_b32_e64 v13, 0, -1, vcc_lo
	v_cmp_le_u32_e32 vcc_lo, s19, v10
	s_wait_alu 0xfffd
	v_cndmask_b32_e64 v14, 0, -1, vcc_lo
	v_cmp_le_u32_e32 vcc_lo, s18, v7
	;; [unrolled: 3-line block ×3, first 2 shown]
	s_wait_alu 0xfffd
	v_cndmask_b32_e64 v15, 0, -1, vcc_lo
	v_cmp_eq_u32_e32 vcc_lo, s19, v10
	s_wait_alu 0xf1ff
	s_delay_alu instid0(VALU_DEP_2)
	v_cndmask_b32_e64 v7, v15, v7, s2
	s_wait_alu 0xfffd
	v_cndmask_b32_e32 v10, v14, v13, vcc_lo
	v_add_co_u32 v13, vcc_lo, v4, 1
	s_wait_alu 0xfffd
	v_add_co_ci_u32_e32 v14, vcc_lo, 0, v9, vcc_lo
	s_delay_alu instid0(VALU_DEP_3) | instskip(SKIP_2) | instid1(VALU_DEP_3)
	v_cmp_ne_u32_e32 vcc_lo, 0, v10
	s_wait_alu 0xfffd
	v_cndmask_b32_e32 v10, v13, v11, vcc_lo
	v_cndmask_b32_e32 v8, v14, v12, vcc_lo
	v_cmp_ne_u32_e32 vcc_lo, 0, v7
	s_wait_alu 0xfffd
	s_delay_alu instid0(VALU_DEP_2)
	v_dual_cndmask_b32 v7, v4, v10 :: v_dual_cndmask_b32 v8, v9, v8
.LBB0_4:                                ;   in Loop: Header=BB0_2 Depth=1
	s_wait_alu 0xfffe
	s_and_not1_saveexec_b32 s2, s20
	s_cbranch_execz .LBB0_6
; %bb.5:                                ;   in Loop: Header=BB0_2 Depth=1
	v_cvt_f32_u32_e32 v4, s18
	s_sub_co_i32 s20, 0, s18
	s_delay_alu instid0(VALU_DEP_1) | instskip(NEXT) | instid1(TRANS32_DEP_1)
	v_rcp_iflag_f32_e32 v4, v4
	v_mul_f32_e32 v4, 0x4f7ffffe, v4
	s_delay_alu instid0(VALU_DEP_1) | instskip(SKIP_1) | instid1(VALU_DEP_1)
	v_cvt_u32_f32_e32 v4, v4
	s_wait_alu 0xfffe
	v_mul_lo_u32 v7, s20, v4
	s_delay_alu instid0(VALU_DEP_1) | instskip(NEXT) | instid1(VALU_DEP_1)
	v_mul_hi_u32 v7, v4, v7
	v_add_nc_u32_e32 v4, v4, v7
	s_delay_alu instid0(VALU_DEP_1) | instskip(NEXT) | instid1(VALU_DEP_1)
	v_mul_hi_u32 v4, v5, v4
	v_mul_lo_u32 v7, v4, s18
	v_add_nc_u32_e32 v8, 1, v4
	s_delay_alu instid0(VALU_DEP_2) | instskip(NEXT) | instid1(VALU_DEP_1)
	v_sub_nc_u32_e32 v7, v5, v7
	v_subrev_nc_u32_e32 v9, s18, v7
	v_cmp_le_u32_e32 vcc_lo, s18, v7
	s_wait_alu 0xfffd
	s_delay_alu instid0(VALU_DEP_2) | instskip(NEXT) | instid1(VALU_DEP_1)
	v_dual_cndmask_b32 v7, v7, v9 :: v_dual_cndmask_b32 v4, v4, v8
	v_cmp_le_u32_e32 vcc_lo, s18, v7
	s_delay_alu instid0(VALU_DEP_2) | instskip(SKIP_1) | instid1(VALU_DEP_1)
	v_add_nc_u32_e32 v8, 1, v4
	s_wait_alu 0xfffd
	v_dual_cndmask_b32 v7, v4, v8 :: v_dual_mov_b32 v8, v3
.LBB0_6:                                ;   in Loop: Header=BB0_2 Depth=1
	s_wait_alu 0xfffe
	s_or_b32 exec_lo, exec_lo, s2
	s_load_b64 s[20:21], s[12:13], 0x0
	s_delay_alu instid0(VALU_DEP_1)
	v_mul_lo_u32 v4, v8, s18
	v_mul_lo_u32 v11, v7, s19
	v_mad_co_u64_u32 v[9:10], null, v7, s18, 0
	s_add_nc_u64 s[14:15], s[14:15], 1
	s_add_nc_u64 s[12:13], s[12:13], 8
	s_wait_alu 0xfffe
	v_cmp_ge_u64_e64 s2, s[14:15], s[6:7]
	s_add_nc_u64 s[16:17], s[16:17], 8
	s_delay_alu instid0(VALU_DEP_2) | instskip(NEXT) | instid1(VALU_DEP_3)
	v_add3_u32 v4, v10, v11, v4
	v_sub_co_u32 v5, vcc_lo, v5, v9
	s_wait_alu 0xfffd
	s_delay_alu instid0(VALU_DEP_2) | instskip(SKIP_3) | instid1(VALU_DEP_2)
	v_sub_co_ci_u32_e32 v4, vcc_lo, v6, v4, vcc_lo
	s_and_b32 vcc_lo, exec_lo, s2
	s_wait_kmcnt 0x0
	v_mul_lo_u32 v6, s21, v5
	v_mul_lo_u32 v4, s20, v4
	v_mad_co_u64_u32 v[1:2], null, s20, v5, v[1:2]
	s_delay_alu instid0(VALU_DEP_1)
	v_add3_u32 v2, v6, v2, v4
	s_wait_alu 0xfffe
	s_cbranch_vccnz .LBB0_9
; %bb.7:                                ;   in Loop: Header=BB0_2 Depth=1
	v_dual_mov_b32 v5, v7 :: v_dual_mov_b32 v6, v8
	s_branch .LBB0_2
.LBB0_8:
	v_dual_mov_b32 v8, v6 :: v_dual_mov_b32 v7, v5
.LBB0_9:
	s_lshl_b64 s[2:3], s[6:7], 3
	v_mul_hi_u32 v5, 0x2082083, v0
	s_wait_alu 0xfffe
	s_add_nc_u64 s[2:3], s[10:11], s[2:3]
	s_load_b64 s[2:3], s[2:3], 0x0
	s_load_b64 s[0:1], s[0:1], 0x20
	s_wait_kmcnt 0x0
	v_mul_lo_u32 v3, s2, v8
	v_mul_lo_u32 v4, s3, v7
	v_mad_co_u64_u32 v[1:2], null, s2, v7, v[1:2]
	v_cmp_gt_u64_e32 vcc_lo, s[0:1], v[7:8]
	s_delay_alu instid0(VALU_DEP_2) | instskip(SKIP_1) | instid1(VALU_DEP_2)
	v_add3_u32 v2, v4, v2, v3
	v_mul_u32_u24_e32 v3, 0x7e, v5
	v_lshlrev_b64_e32 v[4:5], 2, v[1:2]
	s_delay_alu instid0(VALU_DEP_2)
	v_sub_nc_u32_e32 v0, v0, v3
	s_and_saveexec_b32 s1, vcc_lo
	s_cbranch_execz .LBB0_13
; %bb.10:
	v_mov_b32_e32 v1, 0
	s_delay_alu instid0(VALU_DEP_3) | instskip(SKIP_2) | instid1(VALU_DEP_3)
	v_add_co_u32 v2, s0, s8, v4
	s_wait_alu 0xf1ff
	v_add_co_ci_u32_e64 v3, s0, s9, v5, s0
	v_lshlrev_b64_e32 v[6:7], 2, v[0:1]
	s_mov_b32 s2, exec_lo
	s_delay_alu instid0(VALU_DEP_1) | instskip(SKIP_1) | instid1(VALU_DEP_2)
	v_add_co_u32 v6, s0, v2, v6
	s_wait_alu 0xf1ff
	v_add_co_ci_u32_e64 v7, s0, v3, v7, s0
	s_clause 0xe
	global_load_b32 v8, v[6:7], off
	global_load_b32 v9, v[6:7], off offset:504
	global_load_b32 v10, v[6:7], off offset:1008
	;; [unrolled: 1-line block ×14, first 2 shown]
	v_lshl_add_u32 v7, v0, 2, 0
	s_delay_alu instid0(VALU_DEP_1)
	v_add_nc_u32_e32 v22, 0x200, v7
	v_add_nc_u32_e32 v23, 0x600, v7
	;; [unrolled: 1-line block ×6, first 2 shown]
	s_wait_loadcnt 0xd
	ds_store_2addr_b32 v7, v8, v9 offset1:126
	s_wait_loadcnt 0xb
	ds_store_2addr_b32 v22, v10, v11 offset0:124 offset1:250
	s_wait_loadcnt 0x9
	ds_store_2addr_b32 v23, v12, v13 offset0:120 offset1:246
	s_wait_loadcnt 0x7
	ds_store_2addr_b32 v24, v14, v15 offset0:116 offset1:242
	s_wait_loadcnt 0x5
	ds_store_2addr_b32 v25, v16, v17 offset0:112 offset1:238
	s_wait_loadcnt 0x3
	ds_store_2addr_b32 v26, v18, v19 offset0:108 offset1:234
	s_wait_loadcnt 0x1
	ds_store_2addr_b32 v27, v20, v21 offset0:104 offset1:230
	s_wait_loadcnt 0x0
	ds_store_b32 v7, v6 offset:7056
	v_cmpx_eq_u32_e32 0x7d, v0
	s_cbranch_execz .LBB0_12
; %bb.11:
	global_load_b32 v2, v[2:3], off offset:7560
	v_mov_b32_e32 v0, 0x7d
	s_wait_loadcnt 0x0
	ds_store_b32 v1, v2 offset:7560
.LBB0_12:
	s_wait_alu 0xfffe
	s_or_b32 exec_lo, exec_lo, s2
.LBB0_13:
	s_wait_alu 0xfffe
	s_or_b32 exec_lo, exec_lo, s1
	v_lshlrev_b32_e32 v2, 2, v0
	global_wb scope:SCOPE_SE
	s_wait_dscnt 0x0
	s_barrier_signal -1
	s_barrier_wait -1
	global_inv scope:SCOPE_SE
	v_add_nc_u32_e32 v21, 0, v2
	v_sub_nc_u32_e32 v3, 0, v2
	s_mov_b32 s1, exec_lo
                                        ; implicit-def: $vgpr6_vgpr7
	ds_load_u16 v10, v21
	ds_load_u16 v11, v3 offset:7560
	s_wait_dscnt 0x0
	v_add_f16_e32 v9, v11, v10
	v_sub_f16_e32 v8, v10, v11
	v_cmpx_ne_u32_e32 0, v0
	s_wait_alu 0xfffe
	s_xor_b32 s1, exec_lo, s1
	s_cbranch_execz .LBB0_15
; %bb.14:
	v_mov_b32_e32 v1, 0
	v_add_f16_e32 v9, v11, v10
	v_sub_f16_e32 v10, v10, v11
	s_delay_alu instid0(VALU_DEP_3) | instskip(NEXT) | instid1(VALU_DEP_1)
	v_lshlrev_b64_e32 v[6:7], 2, v[0:1]
	v_add_co_u32 v6, s0, s4, v6
	s_wait_alu 0xf1ff
	s_delay_alu instid0(VALU_DEP_2)
	v_add_co_ci_u32_e64 v7, s0, s5, v7, s0
	global_load_b32 v6, v[6:7], off offset:7552
	ds_load_u16 v7, v3 offset:7562
	ds_load_u16 v8, v21 offset:2
	s_wait_dscnt 0x0
	v_add_f16_e32 v11, v7, v8
	v_sub_f16_e32 v7, v8, v7
	s_wait_loadcnt 0x0
	v_lshrrev_b32_e32 v12, 16, v6
	s_delay_alu instid0(VALU_DEP_1) | instskip(NEXT) | instid1(VALU_DEP_3)
	v_fma_f16 v13, -v10, v12, v9
	v_fma_f16 v14, v11, v12, -v7
	v_fma_f16 v8, v11, v12, v7
	v_fma_f16 v9, v10, v12, v9
	s_delay_alu instid0(VALU_DEP_4) | instskip(NEXT) | instid1(VALU_DEP_4)
	v_fmac_f16_e32 v13, v6, v11
	v_fmac_f16_e32 v14, v10, v6
	s_delay_alu instid0(VALU_DEP_4) | instskip(NEXT) | instid1(VALU_DEP_4)
	v_fmac_f16_e32 v8, v10, v6
	v_fma_f16 v9, -v6, v11, v9
	v_dual_mov_b32 v7, v1 :: v_dual_mov_b32 v6, v0
	s_delay_alu instid0(VALU_DEP_4)
	v_pack_b32_f16 v10, v13, v14
	ds_store_b32 v3, v10 offset:7560
.LBB0_15:
	s_wait_alu 0xfffe
	s_and_not1_saveexec_b32 s0, s1
	s_cbranch_execz .LBB0_17
; %bb.16:
	v_mov_b32_e32 v1, 0
	ds_load_b32 v6, v1 offset:3780
	s_wait_dscnt 0x0
	v_pk_mul_f16 v10, 0xc0004000, v6
	v_mov_b32_e32 v6, 0
	v_mov_b32_e32 v7, 0
	ds_store_b32 v1, v10 offset:3780
.LBB0_17:
	s_wait_alu 0xfffe
	s_or_b32 exec_lo, exec_lo, s0
	v_lshlrev_b64_e32 v[6:7], 2, v[6:7]
	s_add_nc_u64 s[0:1], s[4:5], 0x1d80
	v_perm_b32 v8, v8, v9, 0x5040100
	s_wait_alu 0xfffe
	s_delay_alu instid0(VALU_DEP_2)
	v_add_co_u32 v6, s0, s0, v6
	s_wait_alu 0xf1ff
	v_add_co_ci_u32_e64 v7, s0, s1, v7, s0
	v_cmp_gt_u32_e64 s0, 63, v0
	s_clause 0x5
	global_load_b32 v1, v[6:7], off offset:504
	global_load_b32 v10, v[6:7], off offset:1008
	;; [unrolled: 1-line block ×6, first 2 shown]
	ds_store_b32 v21, v8
	ds_load_b32 v8, v21 offset:504
	ds_load_b32 v9, v3 offset:7056
	s_wait_dscnt 0x1
	v_lshrrev_b32_e32 v15, 16, v8
	s_wait_dscnt 0x0
	v_lshrrev_b32_e32 v16, 16, v9
	v_add_f16_e32 v17, v8, v9
	v_sub_f16_e32 v8, v8, v9
	s_delay_alu instid0(VALU_DEP_3) | instskip(SKIP_3) | instid1(VALU_DEP_1)
	v_add_f16_e32 v9, v16, v15
	v_sub_f16_e32 v15, v15, v16
	s_wait_loadcnt 0x5
	v_lshrrev_b32_e32 v18, 16, v1
	v_fma_f16 v16, v8, v18, v17
	s_delay_alu instid0(VALU_DEP_3) | instskip(SKIP_2) | instid1(VALU_DEP_4)
	v_fma_f16 v19, v9, v18, v15
	v_fma_f16 v17, -v8, v18, v17
	v_fma_f16 v15, v9, v18, -v15
	v_fma_f16 v16, -v1, v9, v16
	s_delay_alu instid0(VALU_DEP_4) | instskip(NEXT) | instid1(VALU_DEP_4)
	v_fmac_f16_e32 v19, v8, v1
	v_fmac_f16_e32 v17, v1, v9
	s_delay_alu instid0(VALU_DEP_4) | instskip(NEXT) | instid1(VALU_DEP_3)
	v_fmac_f16_e32 v15, v8, v1
	v_pack_b32_f16 v1, v16, v19
	s_wait_loadcnt 0x4
	v_lshrrev_b32_e32 v16, 16, v10
	s_delay_alu instid0(VALU_DEP_3)
	v_pack_b32_f16 v8, v17, v15
	ds_store_b32 v21, v1 offset:504
	ds_store_b32 v3, v8 offset:7056
	ds_load_b32 v1, v21 offset:1008
	ds_load_b32 v8, v3 offset:6552
	s_wait_dscnt 0x1
	v_lshrrev_b32_e32 v9, 16, v1
	s_wait_dscnt 0x0
	v_lshrrev_b32_e32 v15, 16, v8
	v_add_f16_e32 v17, v1, v8
	v_sub_f16_e32 v1, v1, v8
	s_delay_alu instid0(VALU_DEP_3) | instskip(SKIP_1) | instid1(VALU_DEP_3)
	v_add_f16_e32 v8, v15, v9
	v_sub_f16_e32 v9, v9, v15
	v_fma_f16 v15, v1, v16, v17
	v_fma_f16 v17, -v1, v16, v17
	s_delay_alu instid0(VALU_DEP_3) | instskip(SKIP_1) | instid1(VALU_DEP_4)
	v_fma_f16 v18, v8, v16, v9
	v_fma_f16 v9, v8, v16, -v9
	v_fma_f16 v15, -v10, v8, v15
	s_delay_alu instid0(VALU_DEP_4) | instskip(NEXT) | instid1(VALU_DEP_4)
	v_fmac_f16_e32 v17, v10, v8
	v_fmac_f16_e32 v18, v1, v10
	s_delay_alu instid0(VALU_DEP_4) | instskip(NEXT) | instid1(VALU_DEP_2)
	v_fmac_f16_e32 v9, v1, v10
	v_pack_b32_f16 v1, v15, v18
	s_delay_alu instid0(VALU_DEP_2)
	v_pack_b32_f16 v8, v17, v9
	ds_store_b32 v21, v1 offset:1008
	ds_store_b32 v3, v8 offset:6552
	ds_load_b32 v1, v21 offset:1512
	ds_load_b32 v8, v3 offset:6048
	s_wait_loadcnt 0x3
	v_lshrrev_b32_e32 v15, 16, v11
	s_wait_dscnt 0x1
	v_lshrrev_b32_e32 v9, 16, v1
	s_wait_dscnt 0x0
	v_lshrrev_b32_e32 v10, 16, v8
	v_add_f16_e32 v16, v1, v8
	v_sub_f16_e32 v1, v1, v8
	s_delay_alu instid0(VALU_DEP_3) | instskip(SKIP_1) | instid1(VALU_DEP_3)
	v_add_f16_e32 v8, v10, v9
	v_sub_f16_e32 v9, v9, v10
	v_fma_f16 v10, v1, v15, v16
	v_fma_f16 v16, -v1, v15, v16
	s_delay_alu instid0(VALU_DEP_3) | instskip(SKIP_1) | instid1(VALU_DEP_4)
	v_fma_f16 v17, v8, v15, v9
	v_fma_f16 v9, v8, v15, -v9
	v_fma_f16 v10, -v11, v8, v10
	s_delay_alu instid0(VALU_DEP_4) | instskip(NEXT) | instid1(VALU_DEP_4)
	v_fmac_f16_e32 v16, v11, v8
	v_fmac_f16_e32 v17, v1, v11
	s_delay_alu instid0(VALU_DEP_4) | instskip(SKIP_2) | instid1(VALU_DEP_3)
	v_fmac_f16_e32 v9, v1, v11
	s_wait_loadcnt 0x2
	v_lshrrev_b32_e32 v11, 16, v12
	v_pack_b32_f16 v1, v10, v17
	s_delay_alu instid0(VALU_DEP_3)
	v_pack_b32_f16 v8, v16, v9
	ds_store_b32 v21, v1 offset:1512
	ds_store_b32 v3, v8 offset:6048
	ds_load_b32 v1, v21 offset:2016
	ds_load_b32 v8, v3 offset:5544
	s_wait_dscnt 0x1
	v_lshrrev_b32_e32 v9, 16, v1
	s_wait_dscnt 0x0
	v_lshrrev_b32_e32 v10, 16, v8
	v_add_f16_e32 v15, v1, v8
	v_sub_f16_e32 v1, v1, v8
	s_delay_alu instid0(VALU_DEP_3) | instskip(SKIP_1) | instid1(VALU_DEP_3)
	v_add_f16_e32 v8, v10, v9
	v_sub_f16_e32 v9, v9, v10
	v_fma_f16 v10, v1, v11, v15
	v_fma_f16 v15, -v1, v11, v15
	s_delay_alu instid0(VALU_DEP_3) | instskip(SKIP_1) | instid1(VALU_DEP_4)
	v_fma_f16 v16, v8, v11, v9
	v_fma_f16 v9, v8, v11, -v9
	v_fma_f16 v10, -v12, v8, v10
	s_delay_alu instid0(VALU_DEP_4) | instskip(SKIP_4) | instid1(VALU_DEP_2)
	v_fmac_f16_e32 v15, v12, v8
	s_wait_loadcnt 0x1
	v_lshrrev_b32_e32 v11, 16, v13
	v_fmac_f16_e32 v16, v1, v12
	v_fmac_f16_e32 v9, v1, v12
	v_pack_b32_f16 v1, v10, v16
	s_delay_alu instid0(VALU_DEP_2)
	v_pack_b32_f16 v8, v15, v9
	ds_store_b32 v21, v1 offset:2016
	ds_store_b32 v3, v8 offset:5544
	ds_load_b32 v1, v21 offset:2520
	ds_load_b32 v8, v3 offset:5040
	s_wait_dscnt 0x1
	v_lshrrev_b32_e32 v9, 16, v1
	s_wait_dscnt 0x0
	v_lshrrev_b32_e32 v10, 16, v8
	v_add_f16_e32 v12, v1, v8
	v_sub_f16_e32 v1, v1, v8
	s_delay_alu instid0(VALU_DEP_3) | instskip(SKIP_1) | instid1(VALU_DEP_3)
	v_add_f16_e32 v8, v10, v9
	v_sub_f16_e32 v9, v9, v10
	v_fma_f16 v10, v1, v11, v12
	v_fma_f16 v12, -v1, v11, v12
	s_delay_alu instid0(VALU_DEP_3) | instskip(SKIP_1) | instid1(VALU_DEP_4)
	v_fma_f16 v15, v8, v11, v9
	v_fma_f16 v9, v8, v11, -v9
	v_fma_f16 v10, -v13, v8, v10
	s_delay_alu instid0(VALU_DEP_4) | instskip(SKIP_4) | instid1(VALU_DEP_2)
	v_fmac_f16_e32 v12, v13, v8
	s_wait_loadcnt 0x0
	v_lshrrev_b32_e32 v11, 16, v14
	v_fmac_f16_e32 v15, v1, v13
	v_fmac_f16_e32 v9, v1, v13
	v_pack_b32_f16 v1, v10, v15
	s_delay_alu instid0(VALU_DEP_2)
	v_pack_b32_f16 v8, v12, v9
	ds_store_b32 v21, v1 offset:2520
	ds_store_b32 v3, v8 offset:5040
	ds_load_b32 v1, v21 offset:3024
	ds_load_b32 v8, v3 offset:4536
	s_wait_dscnt 0x1
	v_lshrrev_b32_e32 v9, 16, v1
	s_wait_dscnt 0x0
	v_lshrrev_b32_e32 v10, 16, v8
	v_add_f16_e32 v12, v1, v8
	v_sub_f16_e32 v1, v1, v8
	s_delay_alu instid0(VALU_DEP_3) | instskip(SKIP_1) | instid1(VALU_DEP_3)
	v_add_f16_e32 v8, v10, v9
	v_sub_f16_e32 v9, v9, v10
	v_fma_f16 v10, v1, v11, v12
	v_fma_f16 v12, -v1, v11, v12
	s_delay_alu instid0(VALU_DEP_3) | instskip(SKIP_1) | instid1(VALU_DEP_4)
	v_fma_f16 v13, v8, v11, v9
	v_fma_f16 v9, v8, v11, -v9
	v_fma_f16 v10, -v14, v8, v10
	s_delay_alu instid0(VALU_DEP_4) | instskip(NEXT) | instid1(VALU_DEP_4)
	v_fmac_f16_e32 v12, v14, v8
	v_fmac_f16_e32 v13, v1, v14
	s_delay_alu instid0(VALU_DEP_4) | instskip(NEXT) | instid1(VALU_DEP_2)
	v_fmac_f16_e32 v9, v1, v14
	v_pack_b32_f16 v1, v10, v13
	s_delay_alu instid0(VALU_DEP_2)
	v_pack_b32_f16 v8, v12, v9
	ds_store_b32 v21, v1 offset:3024
	ds_store_b32 v3, v8 offset:4536
	s_and_saveexec_b32 s1, s0
	s_cbranch_execz .LBB0_19
; %bb.18:
	global_load_b32 v1, v[6:7], off offset:3528
	ds_load_b32 v6, v21 offset:3528
	ds_load_b32 v7, v3 offset:4032
	s_wait_dscnt 0x1
	v_lshrrev_b32_e32 v8, 16, v6
	s_wait_dscnt 0x0
	v_lshrrev_b32_e32 v9, 16, v7
	v_add_f16_e32 v10, v6, v7
	v_sub_f16_e32 v6, v6, v7
	s_delay_alu instid0(VALU_DEP_3) | instskip(SKIP_3) | instid1(VALU_DEP_1)
	v_add_f16_e32 v7, v9, v8
	v_sub_f16_e32 v8, v8, v9
	s_wait_loadcnt 0x0
	v_lshrrev_b32_e32 v11, 16, v1
	v_fma_f16 v9, v6, v11, v10
	s_delay_alu instid0(VALU_DEP_3) | instskip(SKIP_2) | instid1(VALU_DEP_4)
	v_fma_f16 v12, v7, v11, v8
	v_fma_f16 v10, -v6, v11, v10
	v_fma_f16 v8, v7, v11, -v8
	v_fma_f16 v9, -v1, v7, v9
	s_delay_alu instid0(VALU_DEP_4) | instskip(NEXT) | instid1(VALU_DEP_4)
	v_fmac_f16_e32 v12, v6, v1
	v_fmac_f16_e32 v10, v1, v7
	s_delay_alu instid0(VALU_DEP_4) | instskip(NEXT) | instid1(VALU_DEP_3)
	v_fmac_f16_e32 v8, v6, v1
	v_pack_b32_f16 v1, v9, v12
	s_delay_alu instid0(VALU_DEP_2)
	v_pack_b32_f16 v6, v10, v8
	ds_store_b32 v21, v1 offset:3528
	ds_store_b32 v3, v6 offset:4032
.LBB0_19:
	s_wait_alu 0xfffe
	s_or_b32 exec_lo, exec_lo, s1
	v_add_nc_u32_e32 v8, 0xa00, v21
	v_add_nc_u32_e32 v9, 0xe00, v21
	;; [unrolled: 1-line block ×6, first 2 shown]
	global_wb scope:SCOPE_SE
	s_wait_dscnt 0x0
	s_barrier_signal -1
	s_barrier_wait -1
	global_inv scope:SCOPE_SE
	global_wb scope:SCOPE_SE
	s_barrier_signal -1
	s_barrier_wait -1
	global_inv scope:SCOPE_SE
	ds_load_2addr_b32 v[6:7], v8 offset0:116 offset1:242
	ds_load_2addr_b32 v[16:17], v21 offset1:126
	ds_load_2addr_b32 v[18:19], v9 offset0:49 offset1:175
	v_add_nc_u32_e32 v13, 0x1600, v21
	ds_load_2addr_b32 v[23:24], v1 offset0:37 offset1:163
	ds_load_2addr_b32 v[25:26], v11 offset0:124 offset1:250
	;; [unrolled: 1-line block ×5, first 2 shown]
	v_add_nc_u32_e32 v22, 0x7e, v0
	v_add_nc_u32_e32 v1, 0xfc, v0
	;; [unrolled: 1-line block ×5, first 2 shown]
	v_lshl_add_u32 v35, v0, 3, 0
	v_lshl_add_u32 v33, v1, 3, 0
	;; [unrolled: 1-line block ×4, first 2 shown]
	global_wb scope:SCOPE_SE
	s_wait_dscnt 0x0
	v_add_nc_u32_e32 v37, 0x13b0, v35
	v_add_nc_u32_e32 v35, 0x17a0, v35
	s_barrier_signal -1
	s_barrier_wait -1
	v_pk_add_f16 v18, v16, v18 neg_lo:[0,1] neg_hi:[0,1]
	v_pk_add_f16 v19, v17, v19 neg_lo:[0,1] neg_hi:[0,1]
	;; [unrolled: 1-line block ×6, first 2 shown]
	v_pk_fma_f16 v16, v16, 2.0, v18 op_sel_hi:[1,0,1] neg_lo:[0,0,1] neg_hi:[0,0,1]
	v_pk_add_f16 v32, v30, v32 neg_lo:[0,1] neg_hi:[0,1]
	v_pk_add_f16 v23, v6, v23 neg_lo:[0,1] neg_hi:[0,1]
	v_lshl_add_u32 v27, v22, 3, 0
	v_pk_fma_f16 v17, v17, 2.0, v19 op_sel_hi:[1,0,1] neg_lo:[0,0,1] neg_hi:[0,0,1]
	v_pk_fma_f16 v25, v25, 2.0, v24 op_sel_hi:[1,0,1] neg_lo:[0,0,1] neg_hi:[0,0,1]
	v_pk_fma_f16 v26, v26, 2.0, v28 op_sel_hi:[1,0,1] neg_lo:[0,0,1] neg_hi:[0,0,1]
	v_pk_fma_f16 v29, v29, 2.0, v31 op_sel_hi:[1,0,1] neg_lo:[0,0,1] neg_hi:[0,0,1]
	v_pk_fma_f16 v30, v30, 2.0, v32 op_sel_hi:[1,0,1] neg_lo:[0,0,1] neg_hi:[0,0,1]
	v_pk_fma_f16 v6, v6, 2.0, v23 op_sel_hi:[1,0,1] neg_lo:[0,0,1] neg_hi:[0,0,1]
	global_inv scope:SCOPE_SE
	ds_store_2addr_b32 v20, v16, v18 offset1:1
	ds_store_2addr_b32 v27, v17, v19 offset1:1
	;; [unrolled: 1-line block ×7, first 2 shown]
	s_and_saveexec_b32 s1, s0
	s_cbranch_execz .LBB0_21
; %bb.20:
	v_pk_fma_f16 v6, v7, 2.0, v3 op_sel_hi:[1,0,1] neg_lo:[0,0,1] neg_hi:[0,0,1]
	v_add3_u32 v7, v21, v2, 0x1b90
	ds_store_2addr_b32 v7, v6, v3 offset1:1
.LBB0_21:
	s_wait_alu 0xfffe
	s_or_b32 exec_lo, exec_lo, s1
	v_and_b32_e32 v20, 1, v0
	global_wb scope:SCOPE_SE
	s_wait_dscnt 0x0
	s_barrier_signal -1
	s_barrier_wait -1
	global_inv scope:SCOPE_SE
	v_lshlrev_b32_e32 v6, 3, v20
	v_lshrrev_b32_e32 v37, 1, v0
	v_lshrrev_b32_e32 v38, 1, v22
	;; [unrolled: 1-line block ×4, first 2 shown]
	global_load_b64 v[6:7], v6, s[4:5]
	ds_load_2addr_b32 v[16:17], v21 offset1:126
	ds_load_2addr_b32 v[18:19], v12 offset0:120 offset1:246
	ds_load_2addr_b32 v[25:26], v10 offset0:108 offset1:234
	;; [unrolled: 1-line block ×6, first 2 shown]
	ds_load_u16 v35, v21 offset:6050
	ds_load_b32 v36, v21 offset:7056
	v_lshrrev_b32_e32 v41, 1, v15
	v_and_b32_e32 v24, 0xff, v0
	v_and_b32_e32 v23, 0xff, v22
	;; [unrolled: 1-line block ×5, first 2 shown]
	v_mul_u32_u24_e32 v37, 6, v37
	v_mul_u32_u24_e32 v38, 6, v38
	;; [unrolled: 1-line block ×5, first 2 shown]
	v_mul_lo_u16 v45, 0xab, v24
	s_wait_dscnt 0x7
	v_lshrrev_b32_e32 v63, 16, v19
	s_wait_dscnt 0x6
	v_lshrrev_b32_e32 v64, 16, v25
	;; [unrolled: 2-line block ×3, first 2 shown]
	v_lshrrev_b32_e32 v66, 16, v26
	v_lshrrev_b32_e32 v67, 16, v28
	s_wait_dscnt 0x2
	v_lshrrev_b32_e32 v58, 16, v33
	v_lshrrev_b32_e32 v59, 16, v32
	;; [unrolled: 1-line block ×3, first 2 shown]
	s_wait_dscnt 0x0
	v_lshrrev_b32_e32 v62, 16, v36
	v_mul_lo_u16 v46, 0xab, v23
	v_mul_u32_u24_e32 v47, 0xaaab, v42
	v_mul_u32_u24_e32 v48, 0xaaab, v43
	;; [unrolled: 1-line block ×3, first 2 shown]
	v_or_b32_e32 v37, v37, v20
	v_or_b32_e32 v38, v38, v20
	;; [unrolled: 1-line block ×5, first 2 shown]
	v_lshrrev_b16 v41, 10, v45
	v_lshrrev_b32_e32 v54, 16, v16
	v_lshrrev_b16 v45, 10, v46
	v_lshrrev_b32_e32 v55, 16, v17
	v_lshrrev_b32_e32 v56, 16, v29
	;; [unrolled: 1-line block ×5, first 2 shown]
	v_mul_lo_u16 v49, v41, 6
	v_lshrrev_b32_e32 v57, 16, v30
	v_lshrrev_b32_e32 v60, 16, v18
	v_mul_lo_u16 v50, v45, 6
	v_mul_lo_u16 v51, v46, 6
	v_sub_nc_u16 v49, v0, v49
	v_mul_lo_u16 v52, v47, 6
	v_mul_lo_u16 v53, v48, 6
	v_sub_nc_u16 v50, v22, v50
	v_sub_nc_u16 v51, v1, v51
	v_and_b32_e32 v49, 0xff, v49
	v_sub_nc_u16 v52, v14, v52
	v_sub_nc_u16 v53, v15, v53
	v_and_b32_e32 v50, 0xff, v50
	v_lshl_add_u32 v37, v37, 2, 0
	v_and_b32_e32 v51, 0xffff, v51
	v_lshlrev_b32_e32 v69, 3, v49
	v_and_b32_e32 v52, 0xffff, v52
	v_lshl_add_u32 v38, v38, 2, 0
	v_and_b32_e32 v53, 0xffff, v53
	v_lshlrev_b32_e32 v71, 3, v50
	v_lshl_add_u32 v39, v39, 2, 0
	global_wb scope:SCOPE_SE
	s_wait_loadcnt 0x0
	s_barrier_signal -1
	s_barrier_wait -1
	global_inv scope:SCOPE_SE
	v_lshl_add_u32 v40, v40, 2, 0
	v_lshl_add_u32 v20, v20, 2, 0
	v_lshlrev_b32_e32 v72, 3, v51
	v_cmp_gt_u32_e64 s0, 18, v0
	v_lshrrev_b32_e32 v68, 16, v6
	v_lshrrev_b32_e32 v70, 16, v7
	s_delay_alu instid0(VALU_DEP_2) | instskip(SKIP_1) | instid1(VALU_DEP_3)
	v_mul_f16_e32 v73, v68, v63
	v_mul_f16_e32 v74, v68, v19
	v_mul_f16_e32 v75, v70, v64
	v_mul_f16_e32 v76, v70, v25
	v_mul_f16_e32 v77, v68, v65
	v_mul_f16_e32 v78, v68, v27
	v_mul_f16_e32 v79, v70, v66
	v_mul_f16_e32 v80, v70, v26
	v_mul_f16_e32 v81, v68, v67
	v_mul_f16_e32 v82, v68, v28
	v_mul_f16_e32 v83, v35, v70
	v_mul_f16_e32 v84, v70, v31
	v_mul_f16_e32 v85, v58, v68
	v_mul_f16_e32 v86, v33, v68
	v_mul_f16_e32 v87, v59, v70
	v_mul_f16_e32 v88, v32, v70
	v_mul_f16_e32 v89, v61, v68
	v_mul_f16_e32 v68, v34, v68
	v_mul_f16_e32 v90, v62, v70
	v_mul_f16_e32 v70, v36, v70
	v_fmac_f16_e32 v73, v6, v19
	v_fma_f16 v19, v6, v63, -v74
	v_fmac_f16_e32 v75, v7, v25
	v_fma_f16 v25, v7, v64, -v76
	v_fmac_f16_e32 v77, v6, v27
	v_fma_f16 v27, v6, v65, -v78
	v_fmac_f16_e32 v79, v7, v26
	v_fma_f16 v26, v7, v66, -v80
	v_fmac_f16_e32 v81, v6, v28
	v_fma_f16 v28, v6, v67, -v82
	v_fmac_f16_e32 v83, v7, v31
	v_fma_f16 v31, v35, v7, -v84
	v_fmac_f16_e32 v85, v33, v6
	v_fma_f16 v33, v58, v6, -v86
	v_fmac_f16_e32 v87, v32, v7
	v_fma_f16 v32, v59, v7, -v88
	v_fmac_f16_e32 v89, v34, v6
	v_fma_f16 v6, v61, v6, -v68
	v_fmac_f16_e32 v90, v36, v7
	v_fma_f16 v7, v62, v7, -v70
	v_add_f16_e32 v35, v73, v75
	v_sub_f16_e32 v36, v19, v25
	v_add_f16_e32 v58, v54, v19
	v_add_f16_e32 v19, v19, v25
	v_add_f16_e32 v62, v77, v79
	v_sub_f16_e32 v63, v27, v26
	v_add_f16_e32 v64, v55, v27
	v_add_f16_e32 v27, v27, v26
	;; [unrolled: 4-line block ×3, first 2 shown]
	v_add_f16_e32 v34, v16, v73
	v_sub_f16_e32 v59, v73, v75
	v_add_f16_e32 v61, v17, v77
	v_sub_f16_e32 v65, v77, v79
	v_add_f16_e32 v74, v30, v85
	v_add_f16_e32 v76, v85, v87
	v_sub_f16_e32 v77, v33, v32
	v_add_f16_e32 v78, v57, v33
	;; [unrolled: 3-line block ×3, first 2 shown]
	v_sub_f16_e32 v84, v6, v7
	v_add_f16_e32 v85, v60, v6
	v_add_f16_e32 v6, v6, v7
	v_fma_f16 v16, -0.5, v35, v16
	v_fmac_f16_e32 v54, -0.5, v19
	v_add_f16_e32 v66, v29, v81
	v_fmac_f16_e32 v17, -0.5, v62
	v_fmac_f16_e32 v55, -0.5, v27
	v_sub_f16_e32 v73, v81, v83
	v_add_f16_e32 v81, v18, v89
	v_fma_f16 v29, -0.5, v67, v29
	v_fmac_f16_e32 v56, -0.5, v28
	v_sub_f16_e32 v86, v89, v90
	v_add_f16_e32 v34, v34, v75
	v_add_f16_e32 v25, v58, v25
	v_fmac_f16_e32 v30, -0.5, v76
	v_fmac_f16_e32 v57, -0.5, v33
	;; [unrolled: 1-line block ×4, first 2 shown]
	v_fmamk_f16 v6, v36, 0xbaee, v16
	v_fmamk_f16 v35, v59, 0x3aee, v54
	v_fmac_f16_e32 v16, 0x3aee, v36
	v_fmac_f16_e32 v54, 0xbaee, v59
	v_add_f16_e32 v19, v61, v79
	v_add_f16_e32 v26, v64, v26
	;; [unrolled: 1-line block ×6, first 2 shown]
	v_fmamk_f16 v36, v63, 0xbaee, v17
	v_fmamk_f16 v58, v65, 0x3aee, v55
	v_fmac_f16_e32 v17, 0x3aee, v63
	v_fmac_f16_e32 v55, 0xbaee, v65
	v_add_f16_e32 v33, v81, v90
	v_add_f16_e32 v7, v85, v7
	v_fmamk_f16 v59, v68, 0xbaee, v29
	v_fmamk_f16 v61, v73, 0x3aee, v56
	v_fmac_f16_e32 v29, 0x3aee, v68
	v_fmac_f16_e32 v56, 0xbaee, v73
	v_fmamk_f16 v62, v77, 0xbaee, v30
	v_fmac_f16_e32 v30, 0x3aee, v77
	v_fmamk_f16 v63, v80, 0x3aee, v57
	;; [unrolled: 2-line block ×4, first 2 shown]
	v_fmac_f16_e32 v60, 0xbaee, v86
	v_pack_b32_f16 v25, v34, v25
	v_pack_b32_f16 v6, v6, v35
	;; [unrolled: 1-line block ×15, first 2 shown]
	ds_store_2addr_b32 v37, v25, v6 offset1:2
	ds_store_b32 v37, v16 offset:16
	ds_store_2addr_b32 v38, v19, v28 offset1:2
	ds_store_b32 v38, v17 offset:16
	;; [unrolled: 2-line block ×5, first 2 shown]
	global_wb scope:SCOPE_SE
	s_wait_dscnt 0x0
	s_barrier_signal -1
	s_barrier_wait -1
	global_inv scope:SCOPE_SE
	s_clause 0x1
	global_load_b64 v[6:7], v69, s[4:5] offset:16
	global_load_b64 v[16:17], v71, s[4:5] offset:16
	v_lshlrev_b32_e32 v20, 3, v52
	v_lshlrev_b32_e32 v27, 3, v53
	s_clause 0x2
	global_load_b64 v[18:19], v72, s[4:5] offset:16
	global_load_b64 v[25:26], v20, s[4:5] offset:16
	;; [unrolled: 1-line block ×3, first 2 shown]
	v_mul_lo_u16 v20, v24, 57
	v_mul_lo_u16 v29, v23, 57
	v_mul_u32_u24_e32 v30, 0xe38f, v42
	v_mul_u32_u24_e32 v31, 0xe38f, v43
	;; [unrolled: 1-line block ×3, first 2 shown]
	v_lshrrev_b16 v20, 10, v20
	v_lshrrev_b16 v42, 10, v29
	v_lshrrev_b32_e32 v43, 20, v30
	v_lshrrev_b32_e32 v44, 20, v31
	;; [unrolled: 1-line block ×3, first 2 shown]
	v_and_b32_e32 v29, 0xffff, v41
	v_and_b32_e32 v30, 0xffff, v45
	v_mul_lo_u16 v31, v20, 18
	v_mul_lo_u16 v32, v42, 18
	;; [unrolled: 1-line block ×5, first 2 shown]
	v_mul_u32_u24_e32 v36, 0x48, v29
	v_mul_u32_u24_e32 v37, 0x48, v30
	v_sub_nc_u16 v29, v0, v31
	v_sub_nc_u16 v30, v22, v32
	;; [unrolled: 1-line block ×5, first 2 shown]
	v_lshlrev_b32_e32 v35, 2, v49
	v_lshlrev_b32_e32 v38, 2, v50
	v_mul_u32_u24_e32 v41, 0x48, v46
	v_mul_u32_u24_e32 v45, 0x48, v47
	;; [unrolled: 1-line block ×3, first 2 shown]
	v_and_b32_e32 v47, 0xff, v29
	v_and_b32_e32 v48, 0xff, v30
	;; [unrolled: 1-line block ×5, first 2 shown]
	ds_load_2addr_b32 v[14:15], v21 offset1:126
	ds_load_2addr_b32 v[29:30], v11 offset0:124 offset1:250
	ds_load_2addr_b32 v[31:32], v13 offset0:104 offset1:230
	;; [unrolled: 1-line block ×3, first 2 shown]
	v_add3_u32 v59, 0, v36, v35
	ds_load_2addr_b32 v[35:36], v12 offset0:120 offset1:246
	ds_load_u16 v60, v21 offset:3530
	ds_load_b32 v61, v21 offset:7056
	v_add3_u32 v62, 0, v37, v38
	ds_load_2addr_b32 v[37:38], v10 offset0:108 offset1:234
	ds_load_2addr_b32 v[39:40], v8 offset0:116 offset1:242
	v_lshlrev_b32_e32 v49, 2, v51
	v_lshlrev_b32_e32 v50, 2, v52
	;; [unrolled: 1-line block ×5, first 2 shown]
	v_add3_u32 v41, 0, v41, v49
	v_add3_u32 v45, 0, v45, v50
	;; [unrolled: 1-line block ×3, first 2 shown]
	v_lshlrev_b32_e32 v58, 3, v55
	global_wb scope:SCOPE_SE
	s_wait_loadcnt_dscnt 0x0
	s_barrier_signal -1
	s_barrier_wait -1
	global_inv scope:SCOPE_SE
	v_lshrrev_b32_e32 v49, 16, v14
	v_lshrrev_b32_e32 v63, 16, v31
	;; [unrolled: 1-line block ×24, first 2 shown]
	v_mul_f16_e32 v84, v74, v70
	v_mul_f16_e32 v74, v74, v36
	;; [unrolled: 1-line block ×20, first 2 shown]
	v_fmac_f16_e32 v84, v6, v36
	v_fma_f16 v6, v6, v70, -v74
	v_fmac_f16_e32 v85, v7, v37
	v_fma_f16 v7, v7, v71, -v75
	;; [unrolled: 2-line block ×10, first 2 shown]
	v_add_f16_e32 v32, v84, v85
	v_sub_f16_e32 v33, v6, v7
	v_add_f16_e32 v34, v49, v6
	v_add_f16_e32 v6, v6, v7
	v_add_f16_e32 v38, v86, v87
	v_sub_f16_e32 v39, v16, v17
	v_add_f16_e32 v40, v50, v16
	v_add_f16_e32 v16, v16, v17
	;; [unrolled: 4-line block ×4, first 2 shown]
	v_sub_f16_e32 v71, v25, v26
	v_add_f16_e32 v72, v64, v25
	v_add_f16_e32 v25, v25, v26
	;; [unrolled: 1-line block ×3, first 2 shown]
	v_sub_f16_e32 v76, v27, v28
	v_add_f16_e32 v77, v67, v27
	v_add_f16_e32 v27, v27, v28
	v_fma_f16 v14, -0.5, v32, v14
	v_fmac_f16_e32 v49, -0.5, v6
	v_add_f16_e32 v37, v15, v86
	v_sub_f16_e32 v60, v86, v87
	v_add_f16_e32 v69, v30, v90
	v_add_f16_e32 v74, v35, v92
	v_fmac_f16_e32 v15, -0.5, v38
	v_fmac_f16_e32 v50, -0.5, v16
	v_sub_f16_e32 v68, v88, v89
	v_fma_f16 v29, -0.5, v63, v29
	v_fmac_f16_e32 v51, -0.5, v18
	v_sub_f16_e32 v73, v90, v91
	v_sub_f16_e32 v78, v92, v93
	v_add_f16_e32 v31, v31, v85
	v_add_f16_e32 v7, v34, v7
	;; [unrolled: 1-line block ×4, first 2 shown]
	v_fmac_f16_e32 v30, -0.5, v70
	v_fmac_f16_e32 v64, -0.5, v25
	;; [unrolled: 1-line block ×4, first 2 shown]
	v_fmamk_f16 v27, v33, 0xbaee, v14
	v_fmamk_f16 v32, v36, 0x3aee, v49
	v_fmac_f16_e32 v14, 0x3aee, v33
	v_fmac_f16_e32 v49, 0xbaee, v36
	v_add_f16_e32 v6, v37, v87
	v_add_f16_e32 v17, v40, v17
	;; [unrolled: 1-line block ×6, first 2 shown]
	v_fmamk_f16 v33, v39, 0xbaee, v15
	v_fmamk_f16 v34, v60, 0x3aee, v50
	v_fmac_f16_e32 v15, 0x3aee, v39
	v_fmac_f16_e32 v50, 0xbaee, v60
	v_fmamk_f16 v36, v65, 0xbaee, v29
	v_fmamk_f16 v37, v68, 0x3aee, v51
	v_fmac_f16_e32 v29, 0x3aee, v65
	v_fmac_f16_e32 v51, 0xbaee, v68
	v_fmamk_f16 v38, v71, 0xbaee, v30
	v_fmac_f16_e32 v30, 0x3aee, v71
	v_fmamk_f16 v39, v73, 0x3aee, v64
	;; [unrolled: 2-line block ×4, first 2 shown]
	v_fmac_f16_e32 v67, 0xbaee, v78
	v_pack_b32_f16 v7, v31, v7
	v_pack_b32_f16 v16, v16, v19
	;; [unrolled: 1-line block ×15, first 2 shown]
	ds_store_2addr_b32 v59, v7, v19 offset1:6
	ds_store_b32 v59, v14 offset:48
	ds_store_2addr_b32 v62, v6, v25 offset1:6
	ds_store_b32 v62, v15 offset:48
	;; [unrolled: 2-line block ×5, first 2 shown]
	global_wb scope:SCOPE_SE
	s_wait_dscnt 0x0
	s_barrier_signal -1
	s_barrier_wait -1
	global_inv scope:SCOPE_SE
	s_clause 0x1
	global_load_b64 v[14:15], v52, s[4:5] offset:64
	global_load_b64 v[16:17], v53, s[4:5] offset:64
	v_lshlrev_b32_e32 v6, 3, v56
	v_lshlrev_b32_e32 v7, 3, v57
	s_clause 0x2
	global_load_b64 v[18:19], v58, s[4:5] offset:64
	global_load_b64 v[26:27], v6, s[4:5] offset:64
	;; [unrolled: 1-line block ×3, first 2 shown]
	v_and_b32_e32 v6, 0xffff, v20
	v_and_b32_e32 v7, 0xffff, v42
	v_mul_u32_u24_e32 v20, 0xd8, v43
	ds_load_2addr_b32 v[30:31], v21 offset1:126
	ds_load_2addr_b32 v[32:33], v11 offset0:124 offset1:250
	ds_load_2addr_b32 v[34:35], v13 offset0:104 offset1:230
	v_mul_u32_u24_e32 v6, 0xd8, v6
	v_mul_u32_u24_e32 v43, 0xd8, v7
	v_lshlrev_b32_e32 v7, 2, v47
	ds_load_2addr_b32 v[36:37], v9 offset0:112 offset1:238
	v_mul_u32_u24_e32 v25, 0xd8, v44
	v_lshlrev_b32_e32 v44, 2, v48
	v_lshlrev_b32_e32 v47, 2, v55
	v_add3_u32 v49, 0, v6, v7
	ds_load_2addr_b32 v[6:7], v12 offset0:120 offset1:246
	ds_load_u16 v50, v21 offset:3530
	ds_load_b32 v51, v21 offset:7056
	ds_load_2addr_b32 v[9:10], v10 offset0:108 offset1:234
	ds_load_2addr_b32 v[11:12], v8 offset0:116 offset1:242
	v_lshlrev_b32_e32 v48, 2, v56
	v_lshlrev_b32_e32 v13, 2, v57
	v_add3_u32 v8, 0, v20, v47
	v_mul_u32_u24_e32 v42, 0xd8, v54
	v_add3_u32 v43, 0, v43, v44
	v_add3_u32 v20, 0, v25, v48
	v_add_nc_u32_e32 v38, 0x400, v21
	v_add_nc_u32_e32 v39, 0x800, v21
	v_add3_u32 v13, 0, v42, v13
	s_wait_dscnt 0x6
	v_lshrrev_b32_e32 v48, 16, v34
	v_lshrrev_b32_e32 v54, 16, v35
	;; [unrolled: 1-line block ×4, first 2 shown]
	s_wait_dscnt 0x5
	v_lshrrev_b32_e32 v53, 16, v36
	v_lshrrev_b32_e32 v55, 16, v37
	;; [unrolled: 1-line block ×3, first 2 shown]
	s_wait_dscnt 0x4
	v_lshrrev_b32_e32 v57, 16, v7
	v_lshrrev_b32_e32 v52, 16, v33
	s_wait_dscnt 0x1
	v_lshrrev_b32_e32 v58, 16, v9
	s_wait_dscnt 0x0
	v_lshrrev_b32_e32 v59, 16, v11
	v_lshrrev_b32_e32 v60, 16, v10
	;; [unrolled: 1-line block ×4, first 2 shown]
	v_add_nc_u32_e32 v40, 0xc00, v21
	v_add_nc_u32_e32 v41, 0x1000, v21
	;; [unrolled: 1-line block ×4, first 2 shown]
	global_wb scope:SCOPE_SE
	s_wait_loadcnt 0x0
	s_barrier_signal -1
	s_barrier_wait -1
	global_inv scope:SCOPE_SE
	v_lshrrev_b32_e32 v61, 16, v14
	v_lshrrev_b32_e32 v62, 16, v15
	v_lshrrev_b32_e32 v63, 16, v16
	v_lshrrev_b32_e32 v64, 16, v17
	v_lshrrev_b32_e32 v65, 16, v18
	v_lshrrev_b32_e32 v66, 16, v19
	v_lshrrev_b32_e32 v67, 16, v26
	v_lshrrev_b32_e32 v68, 16, v27
	v_lshrrev_b32_e32 v69, 16, v28
	v_lshrrev_b32_e32 v70, 16, v29
	v_mul_f16_e32 v71, v61, v57
	v_mul_f16_e32 v61, v61, v7
	;; [unrolled: 1-line block ×20, first 2 shown]
	v_fmac_f16_e32 v71, v14, v7
	v_fma_f16 v7, v14, v57, -v61
	v_fmac_f16_e32 v72, v15, v9
	v_fma_f16 v9, v15, v58, -v62
	;; [unrolled: 2-line block ×10, first 2 shown]
	v_add_f16_e32 v26, v71, v72
	v_sub_f16_e32 v27, v7, v9
	v_add_f16_e32 v28, v42, v7
	v_add_f16_e32 v7, v7, v9
	v_add_f16_e32 v35, v73, v74
	v_sub_f16_e32 v36, v11, v10
	v_add_f16_e32 v37, v44, v11
	v_add_f16_e32 v11, v11, v10
	;; [unrolled: 4-line block ×6, first 2 shown]
	v_fma_f16 v26, -0.5, v26, v30
	v_fmac_f16_e32 v42, -0.5, v7
	v_add_f16_e32 v56, v33, v77
	v_add_f16_e32 v61, v6, v79
	v_sub_f16_e32 v48, v73, v74
	v_fmac_f16_e32 v31, -0.5, v35
	v_fmac_f16_e32 v44, -0.5, v11
	v_sub_f16_e32 v55, v75, v76
	v_add_f16_e32 v9, v28, v9
	v_fma_f16 v28, -0.5, v51, v32
	v_fmac_f16_e32 v47, -0.5, v12
	v_sub_f16_e32 v60, v77, v78
	v_sub_f16_e32 v65, v79, v80
	v_add_f16_e32 v19, v19, v72
	v_add_f16_e32 v7, v34, v74
	;; [unrolled: 1-line block ×5, first 2 shown]
	v_fmac_f16_e32 v33, -0.5, v57
	v_fmac_f16_e32 v52, -0.5, v15
	;; [unrolled: 1-line block ×4, first 2 shown]
	v_fmamk_f16 v17, v27, 0xbaee, v26
	v_fmac_f16_e32 v26, 0x3aee, v27
	v_fmamk_f16 v27, v29, 0x3aee, v42
	v_add_f16_e32 v12, v56, v78
	v_add_f16_e32 v16, v59, v16
	;; [unrolled: 1-line block ×4, first 2 shown]
	v_fmac_f16_e32 v42, 0xbaee, v29
	v_fmamk_f16 v29, v36, 0xbaee, v31
	v_fmamk_f16 v30, v48, 0x3aee, v44
	v_fmac_f16_e32 v31, 0x3aee, v36
	v_fmac_f16_e32 v44, 0xbaee, v48
	v_fmamk_f16 v32, v53, 0xbaee, v28
	v_fmac_f16_e32 v28, 0x3aee, v53
	v_fmamk_f16 v34, v55, 0x3aee, v47
	;; [unrolled: 2-line block ×6, first 2 shown]
	v_fmac_f16_e32 v25, 0xbaee, v65
	v_pack_b32_f16 v9, v19, v9
	v_pack_b32_f16 v7, v7, v10
	;; [unrolled: 1-line block ×15, first 2 shown]
	ds_store_2addr_b32 v49, v9, v14 offset1:18
	ds_store_b32 v49, v15 offset:144
	ds_store_2addr_b32 v43, v7, v16 offset1:18
	ds_store_b32 v43, v17 offset:144
	;; [unrolled: 2-line block ×5, first 2 shown]
	global_wb scope:SCOPE_SE
	s_wait_dscnt 0x0
	s_barrier_signal -1
	s_barrier_wait -1
	global_inv scope:SCOPE_SE
	ds_load_2addr_b32 v[7:8], v21 offset1:126
	ds_load_2addr_b32 v[19:20], v38 offset0:14 offset1:140
	ds_load_2addr_b32 v[17:18], v39 offset0:28 offset1:154
	;; [unrolled: 1-line block ×6, first 2 shown]
                                        ; implicit-def: $vgpr27
                                        ; implicit-def: $vgpr26
                                        ; implicit-def: $vgpr30
                                        ; implicit-def: $vgpr28
                                        ; implicit-def: $vgpr35
                                        ; implicit-def: $vgpr33
                                        ; implicit-def: $vgpr32
                                        ; implicit-def: $vgpr31
                                        ; implicit-def: $vgpr34
                                        ; implicit-def: $vgpr29
	s_and_saveexec_b32 s1, s0
	s_cbranch_execz .LBB0_23
; %bb.22:
	ds_load_b32 v6, v21 offset:1008
	ds_load_b32 v26, v21 offset:3168
	;; [unrolled: 1-line block ×7, first 2 shown]
	s_wait_dscnt 0x6
	v_lshrrev_b32_e32 v25, 16, v6
	s_wait_dscnt 0x5
	v_lshrrev_b32_e32 v27, 16, v26
	;; [unrolled: 2-line block ×6, first 2 shown]
.LBB0_23:
	s_wait_alu 0xfffe
	s_or_b32 exec_lo, exec_lo, s1
	v_mul_lo_u16 v24, v24, 19
	v_mul_lo_u16 v23, v23, 19
	s_wait_dscnt 0x5
	v_lshrrev_b32_e32 v54, 16, v19
	s_wait_dscnt 0x4
	v_lshrrev_b32_e32 v55, 16, v17
	;; [unrolled: 2-line block ×3, first 2 shown]
	v_lshrrev_b16 v46, 10, v24
	v_lshrrev_b16 v47, 10, v23
	s_wait_dscnt 0x0
	v_lshrrev_b32_e32 v59, 16, v9
	v_lshrrev_b32_e32 v52, 16, v12
	;; [unrolled: 1-line block ×3, first 2 shown]
	v_mul_lo_u16 v24, v46, 54
	v_lshrrev_b32_e32 v56, 16, v15
	v_lshrrev_b32_e32 v57, 16, v13
	;; [unrolled: 1-line block ×4, first 2 shown]
	v_sub_nc_u16 v23, v0, v24
	v_mul_lo_u16 v24, v47, 54
	v_lshrrev_b32_e32 v50, 16, v16
	v_lshrrev_b32_e32 v51, 16, v14
	;; [unrolled: 1-line block ×3, first 2 shown]
	v_and_b32_e32 v48, 0xff, v23
	v_sub_nc_u16 v23, v22, v24
	v_lshrrev_b32_e32 v63, 16, v8
	v_and_b32_e32 v46, 0xffff, v46
	v_and_b32_e32 v47, 0xffff, v47
	v_mul_u32_u24_e32 v24, 6, v48
	v_and_b32_e32 v49, 0xff, v23
	v_lshlrev_b32_e32 v48, 2, v48
	v_mul_u32_u24_e32 v46, 0x5e8, v46
	v_mul_u32_u24_e32 v47, 0x5e8, v47
	v_lshlrev_b32_e32 v23, 2, v24
	v_mul_u32_u24_e32 v24, 6, v49
	v_lshlrev_b32_e32 v49, 2, v49
	v_add3_u32 v46, 0, v46, v48
	global_load_b128 v[36:39], v23, s[4:5] offset:208
	v_lshlrev_b32_e32 v44, 2, v24
	v_add3_u32 v47, 0, v47, v49
	v_add_nc_u32_e32 v48, 0x200, v46
	s_clause 0x2
	global_load_b64 v[23:24], v23, s[4:5] offset:224
	global_load_b128 v[40:43], v44, s[4:5] offset:208
	global_load_b64 v[44:45], v44, s[4:5] offset:224
	global_wb scope:SCOPE_SE
	s_wait_loadcnt 0x0
	s_barrier_signal -1
	s_barrier_wait -1
	global_inv scope:SCOPE_SE
	v_add_nc_u32_e32 v49, 0x200, v47
	v_lshrrev_b32_e32 v64, 16, v36
	v_lshrrev_b32_e32 v65, 16, v37
	;; [unrolled: 1-line block ×12, first 2 shown]
	v_mul_f16_e32 v76, v64, v54
	v_mul_f16_e32 v64, v64, v19
	;; [unrolled: 1-line block ×24, first 2 shown]
	v_fmac_f16_e32 v76, v36, v19
	v_fma_f16 v19, v36, v54, -v64
	v_fmac_f16_e32 v77, v37, v17
	v_fma_f16 v17, v37, v55, -v65
	;; [unrolled: 2-line block ×12, first 2 shown]
	v_add_f16_e32 v23, v76, v81
	v_add_f16_e32 v24, v19, v9
	v_sub_f16_e32 v9, v19, v9
	v_add_f16_e32 v19, v77, v80
	v_add_f16_e32 v37, v17, v11
	v_sub_f16_e32 v38, v77, v80
	v_sub_f16_e32 v11, v17, v11
	v_add_f16_e32 v17, v78, v79
	v_add_f16_e32 v39, v15, v13
	v_sub_f16_e32 v40, v79, v78
	;; [unrolled: 4-line block ×3, first 2 shown]
	v_add_f16_e32 v20, v83, v86
	v_add_f16_e32 v43, v18, v12
	v_sub_f16_e32 v12, v18, v12
	v_add_f16_e32 v18, v84, v85
	v_add_f16_e32 v45, v16, v14
	v_sub_f16_e32 v14, v14, v16
	;; [unrolled: 3-line block ×3, first 2 shown]
	v_sub_f16_e32 v44, v83, v86
	v_sub_f16_e32 v50, v85, v84
	;; [unrolled: 1-line block ×8, first 2 shown]
	v_add_f16_e32 v54, v40, v38
	v_add_f16_e32 v55, v13, v11
	v_sub_f16_e32 v56, v40, v38
	v_sub_f16_e32 v57, v13, v11
	;; [unrolled: 1-line block ×3, first 2 shown]
	v_add_f16_e32 v58, v20, v15
	v_add_f16_e32 v59, v43, v41
	v_sub_f16_e32 v42, v82, v87
	v_sub_f16_e32 v60, v20, v15
	;; [unrolled: 1-line block ×3, first 2 shown]
	v_add_f16_e32 v65, v14, v12
	v_sub_f16_e32 v67, v14, v12
	v_sub_f16_e32 v12, v12, v10
	v_add_f16_e32 v16, v17, v16
	v_add_f16_e32 v17, v39, v51
	v_sub_f16_e32 v38, v38, v36
	v_sub_f16_e32 v40, v36, v40
	;; [unrolled: 1-line block ×7, first 2 shown]
	v_add_f16_e32 v64, v50, v44
	v_sub_f16_e32 v66, v50, v44
	v_add_f16_e32 v36, v54, v36
	v_add_f16_e32 v9, v55, v9
	v_mul_f16_e32 v23, 0x3a52, v23
	v_mul_f16_e32 v24, 0x3a52, v24
	;; [unrolled: 1-line block ×7, first 2 shown]
	v_add_f16_e32 v18, v18, v58
	v_add_f16_e32 v45, v45, v59
	v_sub_f16_e32 v14, v10, v14
	v_sub_f16_e32 v44, v44, v42
	v_add_f16_e32 v10, v65, v10
	v_mul_f16_e32 v58, 0x2b26, v20
	v_mul_f16_e32 v65, 0x3846, v67
	;; [unrolled: 1-line block ×3, first 2 shown]
	v_add_f16_e32 v7, v16, v7
	v_add_f16_e32 v62, v17, v62
	v_mul_f16_e32 v56, 0xbb00, v38
	v_sub_f16_e32 v50, v42, v50
	v_add_f16_e32 v42, v64, v42
	v_mul_f16_e32 v15, 0x3a52, v15
	v_mul_f16_e32 v41, 0x3a52, v41
	;; [unrolled: 1-line block ×3, first 2 shown]
	v_fmamk_f16 v19, v19, 0x2b26, v23
	v_fmamk_f16 v37, v37, 0x2b26, v24
	v_fma_f16 v39, v52, 0x39e0, -v39
	v_fma_f16 v51, v53, 0x39e0, -v51
	;; [unrolled: 1-line block ×4, first 2 shown]
	v_fmamk_f16 v52, v40, 0xb574, v54
	v_fmamk_f16 v53, v13, 0xb574, v55
	v_fma_f16 v38, v38, 0xbb00, -v54
	v_fma_f16 v11, v11, 0xbb00, -v55
	;; [unrolled: 1-line block ×3, first 2 shown]
	v_add_f16_e32 v8, v18, v8
	v_add_f16_e32 v54, v45, v63
	v_mul_f16_e32 v59, 0x2b26, v43
	v_mul_f16_e32 v66, 0xbb00, v44
	v_fma_f16 v55, v60, 0x39e0, -v58
	v_fmamk_f16 v58, v14, 0xb574, v65
	v_fma_f16 v12, v12, 0xbb00, -v65
	v_fma_f16 v14, v14, 0x3574, -v67
	v_fmamk_f16 v16, v16, 0xbcab, v7
	v_fmamk_f16 v17, v17, 0xbcab, v62
	v_fma_f16 v40, v40, 0x3574, -v56
	v_fmamk_f16 v20, v20, 0x2b26, v15
	v_fmamk_f16 v43, v43, 0x2b26, v41
	;; [unrolled: 1-line block ×3, first 2 shown]
	v_fmac_f16_e32 v53, 0xb70e, v9
	v_fmac_f16_e32 v11, 0xb70e, v9
	;; [unrolled: 1-line block ×3, first 2 shown]
	v_fmamk_f16 v9, v18, 0xbcab, v8
	v_fmamk_f16 v18, v45, 0xbcab, v54
	v_fma_f16 v56, v61, 0x39e0, -v59
	v_fma_f16 v15, v60, 0xb9e0, -v15
	;; [unrolled: 1-line block ×5, first 2 shown]
	v_fmac_f16_e32 v52, 0xb70e, v36
	v_fmac_f16_e32 v58, 0xb70e, v10
	;; [unrolled: 1-line block ×4, first 2 shown]
	v_add_f16_e32 v10, v19, v16
	v_add_f16_e32 v19, v37, v17
	v_fmac_f16_e32 v38, 0xb70e, v36
	v_fmac_f16_e32 v40, 0xb70e, v36
	v_add_f16_e32 v36, v39, v16
	v_add_f16_e32 v37, v51, v17
	;; [unrolled: 1-line block ×4, first 2 shown]
	v_fmac_f16_e32 v57, 0xb70e, v42
	v_add_f16_e32 v20, v20, v9
	v_add_f16_e32 v23, v43, v18
	v_fmac_f16_e32 v44, 0xb70e, v42
	v_fmac_f16_e32 v50, 0xb70e, v42
	v_add_f16_e32 v24, v55, v9
	v_add_f16_e32 v39, v56, v18
	v_add_f16_e32 v9, v15, v9
	v_add_f16_e32 v15, v41, v18
	v_add_f16_e32 v18, v53, v10
	v_sub_f16_e32 v41, v19, v52
	v_add_f16_e32 v42, v13, v16
	v_sub_f16_e32 v43, v17, v40
	v_sub_f16_e32 v45, v36, v11
	v_add_f16_e32 v51, v38, v37
	v_add_f16_e32 v11, v11, v36
	v_sub_f16_e32 v36, v37, v38
	v_sub_f16_e32 v13, v16, v13
	v_add_f16_e32 v16, v40, v17
	v_sub_f16_e32 v10, v10, v53
	v_add_f16_e32 v17, v52, v19
	v_add_f16_e32 v19, v58, v20
	v_sub_f16_e32 v37, v23, v57
	v_pack_b32_f16 v7, v7, v62
	v_add_f16_e32 v38, v14, v9
	v_sub_f16_e32 v40, v15, v50
	v_sub_f16_e32 v52, v24, v12
	v_add_f16_e32 v53, v44, v39
	v_add_f16_e32 v12, v12, v24
	v_sub_f16_e32 v24, v39, v44
	v_sub_f16_e32 v9, v9, v14
	v_add_f16_e32 v14, v50, v15
	v_sub_f16_e32 v15, v20, v58
	v_add_f16_e32 v20, v57, v23
	v_pack_b32_f16 v18, v18, v41
	v_pack_b32_f16 v23, v42, v43
	;; [unrolled: 1-line block ×13, first 2 shown]
	ds_store_2addr_b32 v46, v7, v18 offset1:54
	ds_store_2addr_b32 v46, v23, v39 offset0:108 offset1:162
	ds_store_2addr_b32 v48, v11, v13 offset0:88 offset1:142
	ds_store_b32 v46, v10 offset:1296
	ds_store_2addr_b32 v47, v8, v16 offset1:54
	ds_store_2addr_b32 v47, v17, v19 offset0:108 offset1:162
	ds_store_2addr_b32 v49, v12, v9 offset0:88 offset1:142
	ds_store_b32 v47, v14 offset:1296
	s_and_saveexec_b32 s1, s0
	s_cbranch_execz .LBB0_25
; %bb.24:
	v_lshrrev_b16 v7, 1, v1
	v_lshrrev_b32_e32 v14, 16, v3
	s_delay_alu instid0(VALU_DEP_2) | instskip(NEXT) | instid1(VALU_DEP_1)
	v_and_b32_e32 v7, 0xffff, v7
	v_mul_u32_u24_e32 v7, 0x97b5, v7
	s_delay_alu instid0(VALU_DEP_1) | instskip(NEXT) | instid1(VALU_DEP_1)
	v_lshrrev_b32_e32 v7, 20, v7
	v_mul_lo_u16 v7, v7, 54
	s_delay_alu instid0(VALU_DEP_1) | instskip(NEXT) | instid1(VALU_DEP_1)
	v_sub_nc_u16 v7, v1, v7
	v_and_b32_e32 v13, 0xffff, v7
	s_delay_alu instid0(VALU_DEP_1) | instskip(SKIP_1) | instid1(VALU_DEP_2)
	v_mul_u32_u24_e32 v7, 6, v13
	v_lshl_add_u32 v13, v13, 2, 0
	v_lshlrev_b32_e32 v11, 2, v7
	s_delay_alu instid0(VALU_DEP_2)
	v_add_nc_u32_e32 v15, 0x1600, v13
	v_add_nc_u32_e32 v16, 0x1800, v13
	s_clause 0x1
	global_load_b128 v[7:10], v11, s[4:5] offset:208
	global_load_b64 v[11:12], v11, s[4:5] offset:224
	s_wait_loadcnt 0x1
	v_lshrrev_b32_e32 v17, 16, v7
	v_lshrrev_b32_e32 v18, 16, v8
	s_wait_loadcnt 0x0
	v_lshrrev_b32_e32 v19, 16, v12
	v_lshrrev_b32_e32 v24, 16, v11
	;; [unrolled: 1-line block ×4, first 2 shown]
	v_mul_f16_e32 v36, v14, v17
	v_mul_f16_e32 v37, v35, v19
	;; [unrolled: 1-line block ×12, first 2 shown]
	v_fmac_f16_e32 v36, v3, v7
	v_fmac_f16_e32 v37, v33, v12
	;; [unrolled: 1-line block ×4, first 2 shown]
	v_fma_f16 v3, v35, v12, -v19
	v_fma_f16 v7, v14, v7, -v17
	;; [unrolled: 1-line block ×4, first 2 shown]
	v_fmac_f16_e32 v38, v28, v10
	v_fmac_f16_e32 v39, v29, v9
	v_fma_f16 v9, v34, v9, -v23
	v_fma_f16 v10, v30, v10, -v20
	v_add_f16_e32 v18, v7, v3
	v_add_f16_e32 v20, v8, v11
	;; [unrolled: 1-line block ×4, first 2 shown]
	v_sub_f16_e32 v12, v36, v37
	v_sub_f16_e32 v14, v38, v39
	;; [unrolled: 1-line block ×3, first 2 shown]
	v_add_f16_e32 v19, v9, v10
	v_add_f16_e32 v24, v39, v38
	v_sub_f16_e32 v3, v7, v3
	v_sub_f16_e32 v7, v10, v9
	;; [unrolled: 1-line block ×3, first 2 shown]
	v_add_f16_e32 v28, v20, v18
	v_add_f16_e32 v31, v26, v23
	v_sub_f16_e32 v9, v12, v14
	v_sub_f16_e32 v10, v14, v17
	v_add_f16_e32 v11, v14, v17
	v_sub_f16_e32 v14, v18, v19
	v_sub_f16_e32 v27, v19, v20
	;; [unrolled: 1-line block ×6, first 2 shown]
	v_add_f16_e32 v7, v7, v8
	v_sub_f16_e32 v17, v17, v12
	v_sub_f16_e32 v8, v8, v3
	v_add_f16_e32 v19, v19, v28
	v_add_f16_e32 v24, v24, v31
	v_sub_f16_e32 v18, v20, v18
	v_sub_f16_e32 v20, v26, v23
	v_mul_f16_e32 v10, 0x3846, v10
	v_add_f16_e32 v11, v11, v12
	v_mul_f16_e32 v12, 0x3a52, v14
	v_mul_f16_e32 v14, 0x2b26, v27
	;; [unrolled: 1-line block ×4, first 2 shown]
	v_add_f16_e32 v3, v7, v3
	v_mul_f16_e32 v7, 0xbb00, v17
	v_mul_f16_e32 v29, 0xbb00, v8
	v_add_f16_e32 v25, v25, v19
	v_add_f16_e32 v6, v6, v24
	v_mul_f16_e32 v26, 0x2b26, v30
	v_fmamk_f16 v31, v9, 0xb574, v10
	v_fmamk_f16 v27, v27, 0x2b26, v12
	;; [unrolled: 1-line block ×4, first 2 shown]
	v_fma_f16 v7, v9, 0x3574, -v7
	v_fma_f16 v9, v18, 0xb9e0, -v12
	;; [unrolled: 1-line block ×7, first 2 shown]
	v_fmamk_f16 v18, v19, 0xbcab, v25
	v_fmamk_f16 v19, v24, 0xbcab, v6
	v_fma_f16 v17, v20, 0x39e0, -v26
	v_fmac_f16_e32 v31, 0xb70e, v11
	v_fmac_f16_e32 v33, 0xb70e, v3
	;; [unrolled: 1-line block ×6, first 2 shown]
	v_pack_b32_f16 v3, v6, v25
	v_add_f16_e32 v6, v27, v18
	v_add_f16_e32 v11, v30, v19
	;; [unrolled: 1-line block ×8, first 2 shown]
	v_sub_f16_e32 v7, v9, v7
	v_sub_f16_e32 v6, v6, v31
	v_add_f16_e32 v9, v33, v11
	v_sub_f16_e32 v19, v11, v33
	v_sub_f16_e32 v24, v14, v10
	v_add_f16_e32 v10, v10, v14
	v_add_f16_e32 v11, v23, v12
	v_sub_f16_e32 v14, v17, v8
	v_add_f16_e32 v8, v8, v17
	v_sub_f16_e32 v12, v12, v23
	v_pack_b32_f16 v6, v9, v6
	v_pack_b32_f16 v7, v11, v7
	;; [unrolled: 1-line block ×6, first 2 shown]
	ds_store_2addr_b32 v15, v3, v6 offset0:104 offset1:158
	ds_store_2addr_b32 v16, v7, v9 offset0:84 offset1:138
	;; [unrolled: 1-line block ×3, first 2 shown]
	ds_store_b32 v13, v11 offset:7344
.LBB0_25:
	s_wait_alu 0xfffe
	s_or_b32 exec_lo, exec_lo, s1
	v_mov_b32_e32 v3, 0
	global_wb scope:SCOPE_SE
	s_wait_dscnt 0x0
	s_barrier_signal -1
	s_barrier_wait -1
	global_inv scope:SCOPE_SE
	v_lshlrev_b64_e32 v[6:7], 2, v[2:3]
	v_lshlrev_b32_e32 v2, 2, v22
	v_add_nc_u32_e32 v12, 0xa00, v21
	v_add_nc_u32_e32 v10, 0x1200, v21
	;; [unrolled: 1-line block ×4, first 2 shown]
	v_add_co_u32 v6, s0, s4, v6
	v_lshlrev_b64_e32 v[8:9], 2, v[2:3]
	v_lshlrev_b32_e32 v2, 2, v1
	s_wait_alu 0xf1ff
	v_add_co_ci_u32_e64 v7, s0, s5, v7, s0
	s_delay_alu instid0(VALU_DEP_2)
	v_lshlrev_b64_e32 v[1:2], 2, v[2:3]
	global_load_b128 v[16:19], v[6:7], off offset:1504
	v_add_co_u32 v6, s0, s4, v8
	s_wait_alu 0xf1ff
	v_add_co_ci_u32_e64 v7, s0, s5, v9, s0
	v_add_co_u32 v1, s0, s4, v1
	s_wait_alu 0xf1ff
	v_add_co_ci_u32_e64 v2, s0, s5, v2, s0
	global_load_b128 v[22:25], v[6:7], off offset:1504
	v_add_nc_u32_e32 v8, 0x200, v21
	v_add_nc_u32_e32 v9, 0xe00, v21
	global_load_b128 v[26:29], v[1:2], off offset:1504
	ds_load_2addr_b32 v[1:2], v21 offset1:126
	ds_load_b32 v20, v21 offset:7056
	ds_load_2addr_b32 v[30:31], v12 offset0:116 offset1:242
	ds_load_2addr_b32 v[32:33], v10 offset0:108 offset1:234
	;; [unrolled: 1-line block ×6, first 2 shown]
	ds_load_u16 v40, v21 offset:2018
	global_wb scope:SCOPE_SE
	s_wait_loadcnt_dscnt 0x0
	s_barrier_signal -1
	s_barrier_wait -1
	global_inv scope:SCOPE_SE
	v_lshrrev_b32_e32 v42, 16, v20
	v_lshrrev_b32_e32 v50, 16, v30
	;; [unrolled: 1-line block ×18, first 2 shown]
	s_delay_alu instid0(VALU_DEP_4)
	v_mul_f16_e32 v57, v53, v49
	v_mul_f16_e32 v53, v53, v7
	;; [unrolled: 1-line block ×8, first 2 shown]
	v_lshrrev_b32_e32 v61, 16, v22
	v_lshrrev_b32_e32 v62, 16, v23
	;; [unrolled: 1-line block ×4, first 2 shown]
	v_fmac_f16_e32 v57, v16, v7
	v_fma_f16 v7, v16, v49, -v53
	v_fmac_f16_e32 v58, v17, v30
	v_fma_f16 v16, v17, v50, -v54
	v_fmac_f16_e32 v59, v18, v39
	v_fma_f16 v17, v18, v51, -v55
	v_fmac_f16_e32 v60, v19, v34
	v_fma_f16 v18, v19, v52, -v56
	v_mul_f16_e32 v19, v40, v61
	v_mul_f16_e32 v30, v61, v36
	;; [unrolled: 1-line block ×8, first 2 shown]
	v_lshrrev_b32_e32 v53, 16, v26
	v_lshrrev_b32_e32 v54, 16, v27
	;; [unrolled: 1-line block ×4, first 2 shown]
	v_fmac_f16_e32 v19, v22, v36
	v_fma_f16 v22, v40, v22, -v30
	v_fmac_f16_e32 v34, v31, v23
	v_fma_f16 v23, v43, v23, -v39
	;; [unrolled: 2-line block ×4, first 2 shown]
	v_mul_f16_e32 v30, v46, v53
	v_mul_f16_e32 v31, v37, v53
	;; [unrolled: 1-line block ×8, first 2 shown]
	v_add_f16_e32 v45, v58, v59
	v_sub_f16_e32 v53, v57, v58
	v_sub_f16_e32 v54, v60, v59
	v_add_f16_e32 v55, v57, v60
	v_add_f16_e32 v62, v41, v7
	;; [unrolled: 1-line block ×5, first 2 shown]
	v_sub_f16_e32 v50, v7, v18
	v_sub_f16_e32 v52, v16, v17
	;; [unrolled: 1-line block ×9, first 2 shown]
	v_fmac_f16_e32 v30, v37, v26
	v_fma_f16 v26, v46, v26, -v31
	v_fmac_f16_e32 v32, v38, v27
	v_fma_f16 v27, v47, v27, -v35
	;; [unrolled: 2-line block ×4, first 2 shown]
	v_fma_f16 v31, -0.5, v45, v1
	v_add_f16_e32 v33, v53, v54
	v_fma_f16 v1, -0.5, v55, v1
	v_add_f16_e32 v16, v62, v16
	v_fma_f16 v37, -0.5, v63, v41
	v_fmac_f16_e32 v41, -0.5, v67
	v_add_f16_e32 v39, v2, v19
	v_add_f16_e32 v42, v34, v49
	v_sub_f16_e32 v45, v19, v34
	v_sub_f16_e32 v46, v51, v49
	v_add_f16_e32 v47, v19, v51
	v_sub_f16_e32 v48, v34, v19
	v_sub_f16_e32 v53, v49, v51
	v_add_f16_e32 v54, v15, v22
	v_add_f16_e32 v55, v23, v24
	;; [unrolled: 1-line block ×3, first 2 shown]
	v_sub_f16_e32 v57, v57, v60
	v_add_f16_e32 v29, v44, v58
	v_add_f16_e32 v35, v56, v61
	;; [unrolled: 1-line block ×4, first 2 shown]
	v_sub_f16_e32 v43, v22, v25
	v_sub_f16_e32 v44, v23, v24
	;; [unrolled: 1-line block ×7, first 2 shown]
	v_fmamk_f16 v65, v52, 0x3b9c, v1
	v_fmac_f16_e32 v1, 0xbb9c, v52
	v_add_f16_e32 v16, v16, v17
	v_fmamk_f16 v66, v64, 0xbb9c, v41
	v_fmac_f16_e32 v41, 0x3b9c, v64
	v_add_f16_e32 v34, v39, v34
	v_fma_f16 v39, -0.5, v42, v2
	v_add_f16_e32 v42, v45, v46
	v_fmac_f16_e32 v2, -0.5, v47
	v_add_f16_e32 v45, v48, v53
	v_add_f16_e32 v23, v54, v23
	v_fma_f16 v46, -0.5, v55, v15
	v_fmac_f16_e32 v15, -0.5, v62
	v_add_f16_e32 v48, v6, v30
	v_add_f16_e32 v53, v32, v36
	;; [unrolled: 1-line block ×4, first 2 shown]
	v_sub_f16_e32 v19, v19, v51
	v_add_f16_e32 v62, v30, v40
	v_add_f16_e32 v73, v26, v20
	v_add_f16_e32 v29, v29, v59
	v_fmamk_f16 v59, v50, 0xbb9c, v31
	v_fmac_f16_e32 v31, 0x3b9c, v50
	v_fmamk_f16 v17, v57, 0x3b9c, v37
	v_fmac_f16_e32 v37, 0xbb9c, v57
	v_add_f16_e32 v47, v58, v61
	v_add_f16_e32 v22, v22, v63
	v_sub_f16_e32 v54, v26, v20
	v_sub_f16_e32 v55, v27, v28
	;; [unrolled: 1-line block ×8, first 2 shown]
	v_fmac_f16_e32 v65, 0xb8b4, v50
	v_fmac_f16_e32 v1, 0x38b4, v50
	v_add_f16_e32 v16, v16, v18
	v_fmac_f16_e32 v66, 0x38b4, v57
	v_fmac_f16_e32 v41, 0xb8b4, v57
	v_add_f16_e32 v18, v34, v49
	v_fmamk_f16 v49, v44, 0x3b9c, v2
	v_add_f16_e32 v23, v23, v24
	v_fmamk_f16 v50, v56, 0xbb9c, v15
	v_add_f16_e32 v32, v48, v32
	v_fma_f16 v48, -0.5, v53, v6
	v_add_f16_e32 v27, v68, v27
	v_fma_f16 v57, -0.5, v69, v14
	v_fmamk_f16 v34, v43, 0xbb9c, v39
	v_fmac_f16_e32 v39, 0x3b9c, v43
	v_fmamk_f16 v24, v19, 0x3b9c, v46
	v_fmac_f16_e32 v46, 0xbb9c, v19
	v_fmac_f16_e32 v15, 0x3b9c, v56
	v_fmac_f16_e32 v6, -0.5, v62
	v_fmac_f16_e32 v14, -0.5, v73
	v_fmac_f16_e32 v2, 0xbb9c, v44
	v_sub_f16_e32 v61, v40, v36
	v_sub_f16_e32 v72, v20, v28
	;; [unrolled: 1-line block ×3, first 2 shown]
	v_add_f16_e32 v29, v29, v60
	v_fmac_f16_e32 v66, 0x34f2, v7
	v_fmac_f16_e32 v41, 0x34f2, v7
	v_add_f16_e32 v7, v18, v51
	v_fmac_f16_e32 v49, 0xb8b4, v43
	v_add_f16_e32 v18, v23, v25
	v_fmac_f16_e32 v50, 0x38b4, v19
	v_fmamk_f16 v23, v54, 0xbb9c, v48
	v_add_f16_e32 v27, v27, v28
	v_fmamk_f16 v28, v30, 0x3b9c, v57
	v_sub_f16_e32 v67, v36, v40
	v_fmac_f16_e32 v31, 0x38b4, v52
	v_fmac_f16_e32 v37, 0xb8b4, v64
	;; [unrolled: 1-line block ×5, first 2 shown]
	v_add_f16_e32 v19, v32, v36
	v_fmamk_f16 v25, v55, 0x3b9c, v6
	v_fmamk_f16 v32, v70, 0xbb9c, v14
	v_fmac_f16_e32 v6, 0xbb9c, v55
	v_fmac_f16_e32 v14, 0x3b9c, v70
	;; [unrolled: 1-line block ×7, first 2 shown]
	v_add_f16_e32 v52, v58, v61
	v_add_f16_e32 v58, v71, v72
	v_fmac_f16_e32 v65, 0x34f2, v35
	v_fmac_f16_e32 v34, 0xb8b4, v44
	;; [unrolled: 1-line block ×3, first 2 shown]
	v_pack_b32_f16 v16, v29, v16
	v_fmac_f16_e32 v49, 0x34f2, v45
	v_fmac_f16_e32 v50, 0x34f2, v22
	v_fmac_f16_e32 v23, 0xb8b4, v55
	v_fmac_f16_e32 v28, 0x38b4, v70
	v_pack_b32_f16 v7, v7, v18
	v_add_f16_e32 v53, v63, v67
	v_add_f16_e32 v26, v26, v74
	v_fmac_f16_e32 v31, 0x34f2, v33
	v_fmac_f16_e32 v37, 0x34f2, v38
	;; [unrolled: 1-line block ×14, first 2 shown]
	v_add_f16_e32 v19, v19, v40
	v_add_f16_e32 v20, v27, v20
	v_fmac_f16_e32 v34, 0x34f2, v42
	v_fmac_f16_e32 v24, 0x34f2, v47
	v_pack_b32_f16 v22, v65, v66
	v_fmac_f16_e32 v23, 0x34f2, v52
	v_fmac_f16_e32 v28, 0x34f2, v58
	ds_store_2addr_b32 v21, v16, v7 offset1:126
	v_pack_b32_f16 v7, v49, v50
	v_fmac_f16_e32 v1, 0x34f2, v35
	v_pack_b32_f16 v27, v31, v37
	v_fmac_f16_e32 v25, 0x34f2, v53
	v_fmac_f16_e32 v32, 0x34f2, v26
	v_pack_b32_f16 v16, v39, v46
	v_fmac_f16_e32 v6, 0x34f2, v53
	v_fmac_f16_e32 v14, 0x34f2, v26
	v_fmac_f16_e32 v48, 0x34f2, v52
	v_fmac_f16_e32 v57, 0x34f2, v58
	v_pack_b32_f16 v17, v59, v17
	v_pack_b32_f16 v2, v2, v15
	;; [unrolled: 1-line block ×4, first 2 shown]
	ds_store_2addr_b32 v12, v22, v7 offset0:116 offset1:242
	ds_store_2addr_b32 v13, v27, v16 offset0:104 offset1:230
	v_pack_b32_f16 v7, v23, v28
	v_pack_b32_f16 v1, v1, v41
	;; [unrolled: 1-line block ×5, first 2 shown]
	ds_store_2addr_b32 v8, v15, v17 offset0:124 offset1:250
	ds_store_2addr_b32 v11, v18, v7 offset0:120 offset1:246
	ds_store_2addr_b32 v9, v12, v1 offset0:112 offset1:238
	ds_store_2addr_b32 v10, v2, v6 offset0:108 offset1:234
	ds_store_b32 v21, v13 offset:7056
	global_wb scope:SCOPE_SE
	s_wait_dscnt 0x0
	s_barrier_signal -1
	s_barrier_wait -1
	global_inv scope:SCOPE_SE
	s_and_saveexec_b32 s0, vcc_lo
	s_cbranch_execz .LBB0_27
; %bb.26:
	v_dual_mov_b32 v1, v3 :: v_dual_add_nc_u32 v2, 0x7e, v0
	v_add_co_u32 v31, vcc_lo, s8, v4
	s_wait_alu 0xfffd
	v_add_co_ci_u32_e32 v32, vcc_lo, s9, v5, vcc_lo
	s_delay_alu instid0(VALU_DEP_3) | instskip(SKIP_3) | instid1(VALU_DEP_3)
	v_lshlrev_b64_e32 v[4:5], 2, v[2:3]
	v_add_nc_u32_e32 v2, 0xfc, v0
	v_lshl_add_u32 v30, v0, 2, 0
	v_lshlrev_b64_e32 v[8:9], 2, v[0:1]
	v_lshlrev_b64_e32 v[10:11], 2, v[2:3]
	v_add_nc_u32_e32 v2, 0x17a, v0
	s_delay_alu instid0(VALU_DEP_4) | instskip(NEXT) | instid1(VALU_DEP_4)
	v_add_nc_u32_e32 v1, 0x200, v30
	v_add_co_u32 v8, vcc_lo, v31, v8
	s_wait_alu 0xfffd
	v_add_co_ci_u32_e32 v9, vcc_lo, v32, v9, vcc_lo
	v_lshlrev_b64_e32 v[14:15], 2, v[2:3]
	v_add_nc_u32_e32 v2, 0x1f8, v0
	ds_load_2addr_b32 v[12:13], v1 offset0:124 offset1:250
	v_add_nc_u32_e32 v1, 0x600, v30
	ds_load_2addr_b32 v[6:7], v30 offset1:126
	v_add_co_u32 v4, vcc_lo, v31, v4
	v_lshlrev_b64_e32 v[16:17], 2, v[2:3]
	v_add_nc_u32_e32 v2, 0x276, v0
	ds_load_2addr_b32 v[18:19], v1 offset0:120 offset1:246
	v_add_nc_u32_e32 v1, 0xa00, v30
	s_wait_alu 0xfffd
	v_add_co_ci_u32_e32 v5, vcc_lo, v32, v5, vcc_lo
	v_lshlrev_b64_e32 v[20:21], 2, v[2:3]
	v_add_nc_u32_e32 v2, 0x2f4, v0
	v_add_co_u32 v10, vcc_lo, v31, v10
	s_wait_alu 0xfffd
	v_add_co_ci_u32_e32 v11, vcc_lo, v32, v11, vcc_lo
	s_delay_alu instid0(VALU_DEP_3)
	v_lshlrev_b64_e32 v[22:23], 2, v[2:3]
	v_add_nc_u32_e32 v2, 0x372, v0
	v_add_co_u32 v14, vcc_lo, v31, v14
	ds_load_2addr_b32 v[24:25], v1 offset0:116 offset1:242
	s_wait_alu 0xfffd
	v_add_co_ci_u32_e32 v15, vcc_lo, v32, v15, vcc_lo
	v_add_co_u32 v16, vcc_lo, v31, v16
	v_lshlrev_b64_e32 v[26:27], 2, v[2:3]
	v_add_nc_u32_e32 v2, 0x3f0, v0
	s_wait_alu 0xfffd
	v_add_co_ci_u32_e32 v17, vcc_lo, v32, v17, vcc_lo
	v_add_co_u32 v20, vcc_lo, v31, v20
	s_wait_alu 0xfffd
	v_add_co_ci_u32_e32 v21, vcc_lo, v32, v21, vcc_lo
	v_add_co_u32 v22, vcc_lo, v31, v22
	v_lshlrev_b64_e32 v[28:29], 2, v[2:3]
	v_add_nc_u32_e32 v2, 0x46e, v0
	s_wait_alu 0xfffd
	v_add_co_ci_u32_e32 v23, vcc_lo, v32, v23, vcc_lo
	v_add_co_u32 v26, vcc_lo, v31, v26
	s_wait_alu 0xfffd
	v_add_co_ci_u32_e32 v27, vcc_lo, v32, v27, vcc_lo
	s_wait_dscnt 0x2
	s_clause 0x3
	global_store_b32 v[8:9], v6, off
	global_store_b32 v[4:5], v7, off
	;; [unrolled: 1-line block ×4, first 2 shown]
	s_wait_dscnt 0x1
	s_clause 0x1
	global_store_b32 v[16:17], v18, off
	global_store_b32 v[20:21], v19, off
	s_wait_dscnt 0x0
	s_clause 0x1
	global_store_b32 v[22:23], v24, off
	global_store_b32 v[26:27], v25, off
	v_lshlrev_b64_e32 v[6:7], 2, v[2:3]
	v_add_nc_u32_e32 v2, 0x4ec, v0
	v_add_nc_u32_e32 v1, 0xe00, v30
	v_add_co_u32 v8, vcc_lo, v31, v28
	s_wait_alu 0xfffd
	v_add_co_ci_u32_e32 v9, vcc_lo, v32, v29, vcc_lo
	v_lshlrev_b64_e32 v[10:11], 2, v[2:3]
	v_add_nc_u32_e32 v2, 0x56a, v0
	ds_load_2addr_b32 v[4:5], v1 offset0:112 offset1:238
	v_add_nc_u32_e32 v1, 0x1200, v30
	v_add_co_u32 v6, vcc_lo, v31, v6
	v_lshlrev_b64_e32 v[14:15], 2, v[2:3]
	v_add_nc_u32_e32 v2, 0x5e8, v0
	ds_load_2addr_b32 v[12:13], v1 offset0:108 offset1:234
	v_add_nc_u32_e32 v1, 0x1600, v30
	s_wait_alu 0xfffd
	v_add_co_ci_u32_e32 v7, vcc_lo, v32, v7, vcc_lo
	v_lshlrev_b64_e32 v[16:17], 2, v[2:3]
	v_add_nc_u32_e32 v2, 0x666, v0
	ds_load_2addr_b32 v[18:19], v1 offset0:104 offset1:230
	v_add_co_u32 v10, vcc_lo, v31, v10
	ds_load_b32 v22, v30 offset:7056
	v_lshlrev_b64_e32 v[20:21], 2, v[2:3]
	v_add_nc_u32_e32 v2, 0x6e4, v0
	s_wait_alu 0xfffd
	v_add_co_ci_u32_e32 v11, vcc_lo, v32, v11, vcc_lo
	v_add_co_u32 v14, vcc_lo, v31, v14
	s_wait_alu 0xfffd
	v_add_co_ci_u32_e32 v15, vcc_lo, v32, v15, vcc_lo
	v_add_co_u32 v0, vcc_lo, v31, v16
	v_lshlrev_b64_e32 v[2:3], 2, v[2:3]
	s_wait_alu 0xfffd
	v_add_co_ci_u32_e32 v1, vcc_lo, v32, v17, vcc_lo
	v_add_co_u32 v16, vcc_lo, v31, v20
	s_wait_alu 0xfffd
	v_add_co_ci_u32_e32 v17, vcc_lo, v32, v21, vcc_lo
	v_add_co_u32 v2, vcc_lo, v31, v2
	s_wait_alu 0xfffd
	v_add_co_ci_u32_e32 v3, vcc_lo, v32, v3, vcc_lo
	s_wait_dscnt 0x3
	s_clause 0x1
	global_store_b32 v[8:9], v4, off
	global_store_b32 v[6:7], v5, off
	s_wait_dscnt 0x2
	s_clause 0x1
	global_store_b32 v[10:11], v12, off
	global_store_b32 v[14:15], v13, off
	;; [unrolled: 4-line block ×3, first 2 shown]
	s_wait_dscnt 0x0
	global_store_b32 v[2:3], v22, off
.LBB0_27:
	s_nop 0
	s_sendmsg sendmsg(MSG_DEALLOC_VGPRS)
	s_endpgm
	.section	.rodata,"a",@progbits
	.p2align	6, 0x0
	.amdhsa_kernel fft_rtc_back_len1890_factors_2_3_3_3_7_5_wgs_126_tpt_126_halfLds_half_ip_CI_unitstride_sbrr_C2R_dirReg
		.amdhsa_group_segment_fixed_size 0
		.amdhsa_private_segment_fixed_size 0
		.amdhsa_kernarg_size 88
		.amdhsa_user_sgpr_count 2
		.amdhsa_user_sgpr_dispatch_ptr 0
		.amdhsa_user_sgpr_queue_ptr 0
		.amdhsa_user_sgpr_kernarg_segment_ptr 1
		.amdhsa_user_sgpr_dispatch_id 0
		.amdhsa_user_sgpr_private_segment_size 0
		.amdhsa_wavefront_size32 1
		.amdhsa_uses_dynamic_stack 0
		.amdhsa_enable_private_segment 0
		.amdhsa_system_sgpr_workgroup_id_x 1
		.amdhsa_system_sgpr_workgroup_id_y 0
		.amdhsa_system_sgpr_workgroup_id_z 0
		.amdhsa_system_sgpr_workgroup_info 0
		.amdhsa_system_vgpr_workitem_id 0
		.amdhsa_next_free_vgpr 94
		.amdhsa_next_free_sgpr 32
		.amdhsa_reserve_vcc 1
		.amdhsa_float_round_mode_32 0
		.amdhsa_float_round_mode_16_64 0
		.amdhsa_float_denorm_mode_32 3
		.amdhsa_float_denorm_mode_16_64 3
		.amdhsa_fp16_overflow 0
		.amdhsa_workgroup_processor_mode 1
		.amdhsa_memory_ordered 1
		.amdhsa_forward_progress 0
		.amdhsa_round_robin_scheduling 0
		.amdhsa_exception_fp_ieee_invalid_op 0
		.amdhsa_exception_fp_denorm_src 0
		.amdhsa_exception_fp_ieee_div_zero 0
		.amdhsa_exception_fp_ieee_overflow 0
		.amdhsa_exception_fp_ieee_underflow 0
		.amdhsa_exception_fp_ieee_inexact 0
		.amdhsa_exception_int_div_zero 0
	.end_amdhsa_kernel
	.text
.Lfunc_end0:
	.size	fft_rtc_back_len1890_factors_2_3_3_3_7_5_wgs_126_tpt_126_halfLds_half_ip_CI_unitstride_sbrr_C2R_dirReg, .Lfunc_end0-fft_rtc_back_len1890_factors_2_3_3_3_7_5_wgs_126_tpt_126_halfLds_half_ip_CI_unitstride_sbrr_C2R_dirReg
                                        ; -- End function
	.section	.AMDGPU.csdata,"",@progbits
; Kernel info:
; codeLenInByte = 13424
; NumSgprs: 34
; NumVgprs: 94
; ScratchSize: 0
; MemoryBound: 0
; FloatMode: 240
; IeeeMode: 1
; LDSByteSize: 0 bytes/workgroup (compile time only)
; SGPRBlocks: 4
; VGPRBlocks: 11
; NumSGPRsForWavesPerEU: 34
; NumVGPRsForWavesPerEU: 94
; Occupancy: 16
; WaveLimiterHint : 1
; COMPUTE_PGM_RSRC2:SCRATCH_EN: 0
; COMPUTE_PGM_RSRC2:USER_SGPR: 2
; COMPUTE_PGM_RSRC2:TRAP_HANDLER: 0
; COMPUTE_PGM_RSRC2:TGID_X_EN: 1
; COMPUTE_PGM_RSRC2:TGID_Y_EN: 0
; COMPUTE_PGM_RSRC2:TGID_Z_EN: 0
; COMPUTE_PGM_RSRC2:TIDIG_COMP_CNT: 0
	.text
	.p2alignl 7, 3214868480
	.fill 96, 4, 3214868480
	.type	__hip_cuid_27f4374c02b89087,@object ; @__hip_cuid_27f4374c02b89087
	.section	.bss,"aw",@nobits
	.globl	__hip_cuid_27f4374c02b89087
__hip_cuid_27f4374c02b89087:
	.byte	0                               ; 0x0
	.size	__hip_cuid_27f4374c02b89087, 1

	.ident	"AMD clang version 19.0.0git (https://github.com/RadeonOpenCompute/llvm-project roc-6.4.0 25133 c7fe45cf4b819c5991fe208aaa96edf142730f1d)"
	.section	".note.GNU-stack","",@progbits
	.addrsig
	.addrsig_sym __hip_cuid_27f4374c02b89087
	.amdgpu_metadata
---
amdhsa.kernels:
  - .args:
      - .actual_access:  read_only
        .address_space:  global
        .offset:         0
        .size:           8
        .value_kind:     global_buffer
      - .offset:         8
        .size:           8
        .value_kind:     by_value
      - .actual_access:  read_only
        .address_space:  global
        .offset:         16
        .size:           8
        .value_kind:     global_buffer
      - .actual_access:  read_only
        .address_space:  global
        .offset:         24
        .size:           8
        .value_kind:     global_buffer
      - .offset:         32
        .size:           8
        .value_kind:     by_value
      - .actual_access:  read_only
        .address_space:  global
        .offset:         40
        .size:           8
        .value_kind:     global_buffer
      - .actual_access:  read_only
        .address_space:  global
        .offset:         48
        .size:           8
        .value_kind:     global_buffer
      - .offset:         56
        .size:           4
        .value_kind:     by_value
      - .actual_access:  read_only
        .address_space:  global
        .offset:         64
        .size:           8
        .value_kind:     global_buffer
      - .actual_access:  read_only
        .address_space:  global
        .offset:         72
        .size:           8
        .value_kind:     global_buffer
      - .address_space:  global
        .offset:         80
        .size:           8
        .value_kind:     global_buffer
    .group_segment_fixed_size: 0
    .kernarg_segment_align: 8
    .kernarg_segment_size: 88
    .language:       OpenCL C
    .language_version:
      - 2
      - 0
    .max_flat_workgroup_size: 126
    .name:           fft_rtc_back_len1890_factors_2_3_3_3_7_5_wgs_126_tpt_126_halfLds_half_ip_CI_unitstride_sbrr_C2R_dirReg
    .private_segment_fixed_size: 0
    .sgpr_count:     34
    .sgpr_spill_count: 0
    .symbol:         fft_rtc_back_len1890_factors_2_3_3_3_7_5_wgs_126_tpt_126_halfLds_half_ip_CI_unitstride_sbrr_C2R_dirReg.kd
    .uniform_work_group_size: 1
    .uses_dynamic_stack: false
    .vgpr_count:     94
    .vgpr_spill_count: 0
    .wavefront_size: 32
    .workgroup_processor_mode: 1
amdhsa.target:   amdgcn-amd-amdhsa--gfx1201
amdhsa.version:
  - 1
  - 2
...

	.end_amdgpu_metadata
